;; amdgpu-corpus repo=ROCm/rocFFT kind=compiled arch=gfx1201 opt=O3
	.text
	.amdgcn_target "amdgcn-amd-amdhsa--gfx1201"
	.amdhsa_code_object_version 6
	.protected	bluestein_single_fwd_len1716_dim1_sp_op_CI_CI ; -- Begin function bluestein_single_fwd_len1716_dim1_sp_op_CI_CI
	.globl	bluestein_single_fwd_len1716_dim1_sp_op_CI_CI
	.p2align	8
	.type	bluestein_single_fwd_len1716_dim1_sp_op_CI_CI,@function
bluestein_single_fwd_len1716_dim1_sp_op_CI_CI: ; @bluestein_single_fwd_len1716_dim1_sp_op_CI_CI
; %bb.0:
	s_load_b128 s[8:11], s[0:1], 0x28
	v_mul_u32_u24_e32 v1, 0x1a5, v0
	s_mov_b32 s2, exec_lo
	v_mov_b32_e32 v61, 0
	s_delay_alu instid0(VALU_DEP_2) | instskip(NEXT) | instid1(VALU_DEP_1)
	v_lshrrev_b32_e32 v1, 16, v1
	v_add_nc_u32_e32 v60, ttmp9, v1
	s_wait_kmcnt 0x0
	s_delay_alu instid0(VALU_DEP_1)
	v_cmpx_gt_u64_e64 s[8:9], v[60:61]
	s_cbranch_execz .LBB0_31
; %bb.1:
	s_clause 0x1
	s_load_b64 s[8:9], s[0:1], 0x0
	s_load_b64 s[12:13], s[0:1], 0x38
	v_mul_lo_u16 v1, 0x9c, v1
	s_delay_alu instid0(VALU_DEP_1) | instskip(NEXT) | instid1(VALU_DEP_1)
	v_sub_nc_u16 v0, v0, v1
	v_and_b32_e32 v84, 0xffff, v0
	v_cmp_gt_u16_e32 vcc_lo, 0x84, v0
	s_delay_alu instid0(VALU_DEP_2)
	v_lshlrev_b32_e32 v83, 3, v84
	s_and_saveexec_b32 s3, vcc_lo
	s_cbranch_execz .LBB0_3
; %bb.2:
	s_load_b64 s[4:5], s[0:1], 0x18
	s_delay_alu instid0(VALU_DEP_1)
	v_add_nc_u32_e32 v54, 0x800, v83
	v_add_nc_u32_e32 v56, 0x1800, v83
	;; [unrolled: 1-line block ×3, first 2 shown]
	s_wait_kmcnt 0x0
	s_load_b128 s[4:7], s[4:5], 0x0
	s_wait_kmcnt 0x0
	v_mad_co_u64_u32 v[0:1], null, s6, v60, 0
	v_mad_co_u64_u32 v[2:3], null, s4, v84, 0
	s_delay_alu instid0(VALU_DEP_1) | instskip(NEXT) | instid1(VALU_DEP_1)
	v_mad_co_u64_u32 v[4:5], null, s7, v60, v[1:2]
	v_mad_co_u64_u32 v[5:6], null, s5, v84, v[3:4]
	v_mov_b32_e32 v1, v4
	s_mul_u64 s[4:5], s[4:5], 0x420
	s_delay_alu instid0(VALU_DEP_1) | instskip(NEXT) | instid1(VALU_DEP_3)
	v_lshlrev_b64_e32 v[0:1], 3, v[0:1]
	v_mov_b32_e32 v3, v5
	s_delay_alu instid0(VALU_DEP_1) | instskip(NEXT) | instid1(VALU_DEP_3)
	v_lshlrev_b64_e32 v[2:3], 3, v[2:3]
	v_add_co_u32 v10, s2, s10, v0
	s_delay_alu instid0(VALU_DEP_1)
	v_add_co_ci_u32_e64 v11, s2, s11, v1, s2
	s_clause 0x3
	global_load_b64 v[0:1], v83, s[8:9]
	global_load_b64 v[4:5], v83, s[8:9] offset:1056
	global_load_b64 v[6:7], v83, s[8:9] offset:2112
	;; [unrolled: 1-line block ×3, first 2 shown]
	v_add_co_u32 v2, s2, v10, v2
	s_wait_alu 0xf1ff
	v_add_co_ci_u32_e64 v3, s2, v11, v3, s2
	s_clause 0x3
	global_load_b64 v[12:13], v83, s[8:9] offset:4224
	global_load_b64 v[14:15], v83, s[8:9] offset:5280
	;; [unrolled: 1-line block ×4, first 2 shown]
	s_wait_alu 0xfffe
	v_add_co_u32 v10, s2, v2, s4
	s_wait_alu 0xf1ff
	v_add_co_ci_u32_e64 v11, s2, s5, v3, s2
	s_clause 0x2
	global_load_b64 v[22:23], v83, s[8:9] offset:8448
	global_load_b64 v[24:25], v83, s[8:9] offset:9504
	;; [unrolled: 1-line block ×3, first 2 shown]
	v_add_co_u32 v20, s2, v10, s4
	s_wait_alu 0xf1ff
	v_add_co_ci_u32_e64 v21, s2, s5, v11, s2
	global_load_b64 v[2:3], v[2:3], off
	v_add_co_u32 v28, s2, v20, s4
	s_wait_alu 0xf1ff
	v_add_co_ci_u32_e64 v29, s2, s5, v21, s2
	v_add_nc_u32_e32 v55, 0x1000, v83
	s_delay_alu instid0(VALU_DEP_3) | instskip(SKIP_1) | instid1(VALU_DEP_3)
	v_add_co_u32 v30, s2, v28, s4
	s_wait_alu 0xf1ff
	v_add_co_ci_u32_e64 v31, s2, s5, v29, s2
	s_clause 0x2
	global_load_b64 v[10:11], v[10:11], off
	global_load_b64 v[20:21], v[20:21], off
	;; [unrolled: 1-line block ×3, first 2 shown]
	v_add_co_u32 v32, s2, v30, s4
	s_wait_alu 0xf1ff
	v_add_co_ci_u32_e64 v33, s2, s5, v31, s2
	global_load_b64 v[30:31], v[30:31], off
	v_add_co_u32 v34, s2, v32, s4
	s_wait_alu 0xf1ff
	v_add_co_ci_u32_e64 v35, s2, s5, v33, s2
	global_load_b64 v[32:33], v[32:33], off
	v_add_co_u32 v36, s2, v34, s4
	s_wait_alu 0xf1ff
	v_add_co_ci_u32_e64 v37, s2, s5, v35, s2
	global_load_b64 v[34:35], v[34:35], off
	v_add_co_u32 v38, s2, v36, s4
	s_wait_alu 0xf1ff
	v_add_co_ci_u32_e64 v39, s2, s5, v37, s2
	global_load_b64 v[36:37], v[36:37], off
	v_add_co_u32 v40, s2, v38, s4
	s_wait_alu 0xf1ff
	v_add_co_ci_u32_e64 v41, s2, s5, v39, s2
	global_load_b64 v[38:39], v[38:39], off
	v_add_co_u32 v42, s2, v40, s4
	s_wait_alu 0xf1ff
	v_add_co_ci_u32_e64 v43, s2, s5, v41, s2
	global_load_b64 v[40:41], v[40:41], off
	v_add_co_u32 v44, s2, v42, s4
	s_wait_alu 0xf1ff
	v_add_co_ci_u32_e64 v45, s2, s5, v43, s2
	global_load_b64 v[42:43], v[42:43], off
	v_add_co_u32 v46, s2, v44, s4
	s_wait_alu 0xf1ff
	v_add_co_ci_u32_e64 v47, s2, s5, v45, s2
	global_load_b64 v[48:49], v83, s[8:9] offset:11616
	global_load_b64 v[44:45], v[44:45], off
	global_load_b64 v[50:51], v83, s[8:9] offset:12672
	global_load_b64 v[46:47], v[46:47], off
	s_wait_loadcnt 0xe
	v_mul_f32_e32 v52, v3, v1
	v_mul_f32_e32 v53, v2, v1
	s_delay_alu instid0(VALU_DEP_2) | instskip(NEXT) | instid1(VALU_DEP_2)
	v_dual_fmac_f32 v52, v2, v0 :: v_dual_add_nc_u32 v57, 0x2000, v83
	v_fma_f32 v53, v3, v0, -v53
	s_wait_loadcnt 0xd
	v_mul_f32_e32 v1, v11, v5
	s_wait_loadcnt 0xc
	v_dual_mul_f32 v0, v10, v5 :: v_dual_mul_f32 v3, v21, v7
	s_delay_alu instid0(VALU_DEP_2) | instskip(NEXT) | instid1(VALU_DEP_2)
	v_fmac_f32_e32 v1, v10, v4
	v_fma_f32 v2, v11, v4, -v0
	s_wait_loadcnt 0xa
	v_dual_mul_f32 v0, v31, v13 :: v_dual_mul_f32 v7, v20, v7
	v_fmac_f32_e32 v3, v20, v6
	ds_store_2addr_b64 v83, v[52:53], v[1:2] offset1:132
	s_wait_loadcnt 0x9
	v_mul_f32_e32 v2, v33, v15
	v_mul_f32_e32 v5, v29, v9
	v_dual_mul_f32 v9, v28, v9 :: v_dual_fmac_f32 v0, v30, v12
	v_fma_f32 v4, v21, v6, -v7
	s_delay_alu instid0(VALU_DEP_4) | instskip(NEXT) | instid1(VALU_DEP_4)
	v_fmac_f32_e32 v2, v32, v14
	v_fmac_f32_e32 v5, v28, v8
	s_delay_alu instid0(VALU_DEP_4)
	v_fma_f32 v6, v29, v8, -v9
	s_wait_loadcnt 0x6
	v_mul_f32_e32 v8, v39, v23
	ds_store_2addr_b64 v54, v[3:4], v[5:6] offset0:8 offset1:140
	v_dual_mul_f32 v6, v37, v19 :: v_dual_mul_f32 v7, v30, v13
	v_dual_mul_f32 v4, v35, v17 :: v_dual_mul_f32 v3, v32, v15
	s_delay_alu instid0(VALU_DEP_2) | instskip(NEXT) | instid1(VALU_DEP_3)
	v_dual_mul_f32 v5, v34, v17 :: v_dual_fmac_f32 v6, v36, v18
	v_fma_f32 v1, v31, v12, -v7
	s_wait_loadcnt 0x5
	v_dual_mul_f32 v7, v36, v19 :: v_dual_mul_f32 v10, v41, v25
	s_wait_loadcnt 0x4
	v_mul_f32_e32 v12, v43, v27
	v_mul_f32_e32 v9, v38, v23
	v_dual_mul_f32 v11, v40, v25 :: v_dual_fmac_f32 v8, v38, v22
	v_fmac_f32_e32 v4, v34, v16
	v_fma_f32 v3, v33, v14, -v3
	s_wait_loadcnt 0x2
	v_dual_mul_f32 v13, v42, v27 :: v_dual_mul_f32 v14, v45, v49
	v_dual_fmac_f32 v12, v42, v26 :: v_dual_mul_f32 v15, v44, v49
	v_fma_f32 v5, v35, v16, -v5
	s_wait_loadcnt 0x0
	v_mul_f32_e32 v16, v47, v51
	v_dual_mul_f32 v17, v46, v51 :: v_dual_fmac_f32 v14, v44, v48
	v_fma_f32 v7, v37, v18, -v7
	v_fmac_f32_e32 v10, v40, v24
	v_fma_f32 v9, v39, v22, -v9
	v_fma_f32 v11, v41, v24, -v11
	v_fma_f32 v13, v43, v26, -v13
	v_fma_f32 v15, v45, v48, -v15
	v_fmac_f32_e32 v16, v46, v50
	v_fma_f32 v17, v47, v50, -v17
	ds_store_2addr_b64 v55, v[0:1], v[2:3] offset0:16 offset1:148
	ds_store_2addr_b64 v56, v[4:5], v[6:7] offset0:24 offset1:156
	;; [unrolled: 1-line block ×4, first 2 shown]
	ds_store_b64 v83, v[16:17] offset:12672
.LBB0_3:
	s_or_b32 exec_lo, exec_lo, s3
	v_mov_b32_e32 v0, 0
	v_mov_b32_e32 v1, 0
                                        ; kill: def $vgpr2 killed $sgpr0 killed $exec
	global_wb scope:SCOPE_SE
	s_wait_dscnt 0x0
	s_wait_kmcnt 0x0
	s_barrier_signal -1
	s_barrier_wait -1
	global_inv scope:SCOPE_SE
                                        ; implicit-def: $vgpr14
                                        ; implicit-def: $vgpr10
                                        ; implicit-def: $vgpr6
                                        ; implicit-def: $vgpr28
                                        ; implicit-def: $vgpr18
                                        ; implicit-def: $vgpr22
	s_and_saveexec_b32 s2, vcc_lo
	s_cbranch_execz .LBB0_5
; %bb.4:
	v_add_nc_u32_e32 v4, 0x800, v83
	v_add_nc_u32_e32 v5, 0x1000, v83
	;; [unrolled: 1-line block ×5, first 2 shown]
	ds_load_2addr_b64 v[0:3], v83 offset1:132
	ds_load_2addr_b64 v[20:23], v4 offset0:8 offset1:140
	ds_load_2addr_b64 v[16:19], v5 offset0:16 offset1:148
	;; [unrolled: 1-line block ×5, first 2 shown]
	ds_load_b64 v[28:29], v83 offset:12672
.LBB0_5:
	s_wait_alu 0xfffe
	s_or_b32 exec_lo, exec_lo, s2
	s_wait_dscnt 0x0
	v_dual_sub_f32 v70, v3, v29 :: v_dual_sub_f32 v73, v2, v28
	v_dual_add_f32 v30, v28, v2 :: v_dual_add_f32 v31, v29, v3
	s_delay_alu instid0(VALU_DEP_2) | instskip(NEXT) | instid1(VALU_DEP_3)
	v_dual_sub_f32 v80, v23, v5 :: v_dual_mul_f32 v49, 0xbf52af12, v70
	v_mul_f32_e32 v52, 0xbf52af12, v73
	v_dual_mul_f32 v36, 0xbeedf032, v70 :: v_dual_mul_f32 v43, 0xbeedf032, v73
	s_clause 0x1
	s_load_b64 s[4:5], s[0:1], 0x20
	s_load_b64 s[2:3], s[0:1], 0x8
	v_dual_fmamk_f32 v26, v30, 0x3f116cb1, v49 :: v_dual_sub_f32 v79, v20, v6
	v_fma_f32 v27, 0x3f116cb1, v31, -v52
	v_mul_f32_e32 v58, 0xbf7e222b, v70
	v_fma_f32 v25, 0x3f62ad3f, v31, -v43
	v_fmamk_f32 v24, v30, 0x3f62ad3f, v36
	v_dual_mul_f32 v46, 0xbf52af12, v79 :: v_dual_sub_f32 v81, v22, v4
	v_add_f32_e32 v27, v27, v1
	v_mul_f32_e32 v66, 0xbf7e222b, v73
	v_dual_fmamk_f32 v32, v30, 0x3df6dbef, v58 :: v_dual_add_f32 v25, v25, v1
	s_delay_alu instid0(VALU_DEP_4) | instskip(NEXT) | instid1(VALU_DEP_3)
	v_dual_mul_f32 v64, 0xbe750f2a, v81 :: v_dual_sub_f32 v89, v16, v10
	v_fma_f32 v33, 0x3df6dbef, v31, -v66
	v_dual_add_f32 v24, v24, v0 :: v_dual_mul_f32 v57, 0xbf6f5d39, v79
	v_dual_mul_f32 v76, 0x3f6f5d39, v81 :: v_dual_sub_f32 v93, v18, v8
	s_delay_alu instid0(VALU_DEP_4) | instskip(NEXT) | instid1(VALU_DEP_4)
	v_mul_f32_e32 v82, 0x3eedf032, v89
	v_add_f32_e32 v37, v33, v1
	v_dual_add_f32 v33, v7, v21 :: v_dual_add_f32 v34, v32, v0
	v_add_f32_e32 v32, v6, v20
	v_sub_f32_e32 v74, v21, v7
	v_mul_f32_e32 v72, 0xbe750f2a, v79
	s_delay_alu instid0(VALU_DEP_4)
	v_fma_f32 v38, 0x3f116cb1, v33, -v46
	global_wb scope:SCOPE_SE
	s_wait_kmcnt 0x0
	s_barrier_signal -1
	v_mul_f32_e32 v40, 0xbf52af12, v74
	s_barrier_wait -1
	v_add_f32_e32 v25, v38, v25
	global_inv scope:SCOPE_SE
	v_sub_f32_e32 v87, v17, v11
	v_dual_fmamk_f32 v35, v32, 0x3f116cb1, v40 :: v_dual_add_f32 v26, v26, v0
	v_mul_f32_e32 v53, 0xbf6f5d39, v74
	v_mul_f32_e32 v67, 0xbe750f2a, v74
	s_delay_alu instid0(VALU_DEP_3) | instskip(SKIP_1) | instid1(VALU_DEP_4)
	v_dual_mul_f32 v47, 0xbf6f5d39, v87 :: v_dual_add_f32 v24, v35, v24
	v_fma_f32 v35, 0xbeb58ec6, v33, -v57
	v_fmamk_f32 v39, v32, 0xbeb58ec6, v53
	s_delay_alu instid0(VALU_DEP_4)
	v_fmamk_f32 v41, v32, 0xbf788fa5, v67
	v_mul_f32_e32 v51, 0xbf6f5d39, v89
	v_mul_f32_e32 v63, 0x3f29c268, v87
	v_add_f32_e32 v27, v35, v27
	v_dual_add_f32 v26, v39, v26 :: v_dual_add_f32 v35, v5, v23
	v_fma_f32 v39, 0xbf788fa5, v33, -v72
	v_mul_f32_e32 v44, 0xbf7e222b, v80
	v_add_f32_e32 v38, v41, v34
	v_dual_add_f32 v34, v4, v22 :: v_dual_mul_f32 v71, 0x3f6f5d39, v80
	v_fma_f32 v45, 0xbf788fa5, v35, -v64
	v_mul_f32_e32 v48, 0xbf7e222b, v81
	v_dual_mul_f32 v56, 0xbe750f2a, v80 :: v_dual_add_f32 v39, v39, v37
	v_mul_f32_e32 v77, 0x3eedf032, v87
	s_delay_alu instid0(VALU_DEP_4) | instskip(NEXT) | instid1(VALU_DEP_4)
	v_add_f32_e32 v27, v45, v27
	v_fma_f32 v41, 0x3df6dbef, v35, -v48
	v_mul_f32_e32 v68, 0x3f29c268, v89
	v_dual_sub_f32 v94, v13, v15 :: v_dual_sub_f32 v95, v12, v14
	s_delay_alu instid0(VALU_DEP_3)
	v_add_f32_e32 v25, v41, v25
	v_fmamk_f32 v37, v34, 0x3df6dbef, v44
	v_fma_f32 v41, 0xbeb58ec6, v35, -v76
	v_fmamk_f32 v42, v34, 0xbf788fa5, v56
	v_mul_f32_e32 v78, 0x3eedf032, v95
	v_mul_f32_e32 v88, 0xbf29c268, v94
	v_dual_add_f32 v24, v37, v24 :: v_dual_fmamk_f32 v37, v34, 0xbeb58ec6, v71
	s_delay_alu instid0(VALU_DEP_4) | instskip(SKIP_1) | instid1(VALU_DEP_3)
	v_dual_add_f32 v61, v41, v39 :: v_dual_add_f32 v26, v42, v26
	v_add_f32_e32 v41, v9, v19
	v_add_f32_e32 v42, v37, v38
	v_dual_add_f32 v38, v11, v17 :: v_dual_add_f32 v37, v10, v16
	s_delay_alu instid0(VALU_DEP_1) | instskip(NEXT) | instid1(VALU_DEP_2)
	v_fma_f32 v50, 0xbeb58ec6, v38, -v51
	v_fmamk_f32 v54, v37, 0xbf3f9e67, v63
	v_fma_f32 v55, 0xbf3f9e67, v38, -v68
	s_delay_alu instid0(VALU_DEP_3) | instskip(NEXT) | instid1(VALU_DEP_3)
	v_add_f32_e32 v25, v50, v25
	v_dual_fmamk_f32 v45, v37, 0xbeb58ec6, v47 :: v_dual_add_f32 v26, v54, v26
	s_delay_alu instid0(VALU_DEP_3) | instskip(SKIP_1) | instid1(VALU_DEP_3)
	v_dual_add_f32 v27, v55, v27 :: v_dual_mul_f32 v54, 0xbf29c268, v93
	v_fma_f32 v55, 0x3f62ad3f, v38, -v82
	v_dual_add_f32 v24, v45, v24 :: v_dual_sub_f32 v91, v19, v9
	v_add_f32_e32 v39, v8, v18
	v_fmamk_f32 v45, v37, 0x3f62ad3f, v77
	v_mul_f32_e32 v90, 0xbf52af12, v93
	v_fma_f32 v65, 0xbf3f9e67, v41, -v54
	v_dual_mul_f32 v50, 0xbf29c268, v91 :: v_dual_add_f32 v61, v55, v61
	s_delay_alu instid0(VALU_DEP_4) | instskip(NEXT) | instid1(VALU_DEP_4)
	v_add_f32_e32 v45, v45, v42
	v_fma_f32 v69, 0x3f116cb1, v41, -v90
	s_delay_alu instid0(VALU_DEP_3) | instskip(NEXT) | instid1(VALU_DEP_2)
	v_dual_add_f32 v25, v65, v25 :: v_dual_fmamk_f32 v62, v39, 0xbf3f9e67, v50
	v_dual_mul_f32 v55, 0xbe750f2a, v94 :: v_dual_add_f32 v96, v69, v61
	s_delay_alu instid0(VALU_DEP_2) | instskip(SKIP_3) | instid1(VALU_DEP_3)
	v_dual_mul_f32 v69, 0x3eedf032, v94 :: v_dual_add_f32 v24, v62, v24
	v_mul_f32_e32 v59, 0x3f7e222b, v91
	v_mul_f32_e32 v86, 0xbf52af12, v91
	;; [unrolled: 1-line block ×3, first 2 shown]
	v_fmamk_f32 v42, v39, 0x3df6dbef, v59
	s_delay_alu instid0(VALU_DEP_1) | instskip(NEXT) | instid1(VALU_DEP_1)
	v_dual_fmamk_f32 v65, v39, 0x3f116cb1, v86 :: v_dual_add_f32 v26, v42, v26
	v_dual_add_f32 v42, v14, v12 :: v_dual_add_f32 v85, v65, v45
	v_add_f32_e32 v45, v15, v13
	s_delay_alu instid0(VALU_DEP_2)
	v_fmamk_f32 v97, v42, 0x3f62ad3f, v69
	v_mul_f32_e32 v75, 0x3f7e222b, v93
	v_fmamk_f32 v99, v42, 0xbf3f9e67, v88
	v_mul_f32_e32 v65, 0xbe750f2a, v95
	v_fma_f32 v98, 0x3f62ad3f, v45, -v78
	v_add_f32_e32 v26, v97, v26
	v_fma_f32 v62, 0x3df6dbef, v41, -v75
	v_fma_f32 v100, 0xbf3f9e67, v45, -v92
	s_delay_alu instid0(VALU_DEP_2) | instskip(SKIP_1) | instid1(VALU_DEP_2)
	v_add_f32_e32 v27, v62, v27
	v_fmamk_f32 v62, v42, 0xbf788fa5, v55
	v_add_f32_e32 v27, v98, v27
	s_delay_alu instid0(VALU_DEP_2) | instskip(SKIP_1) | instid1(VALU_DEP_1)
	v_add_f32_e32 v61, v62, v24
	v_fma_f32 v24, 0xbf788fa5, v45, -v65
	v_add_f32_e32 v62, v24, v25
	v_dual_add_f32 v24, v99, v85 :: v_dual_add_f32 v25, v100, v96
	v_mul_lo_u16 v85, v84, 13
	s_and_saveexec_b32 s0, vcc_lo
	s_cbranch_execz .LBB0_7
; %bb.6:
	v_mul_f32_e32 v106, 0xbf52af12, v80
	v_mul_f32_e32 v116, 0x3f52af12, v89
	;; [unrolled: 1-line block ×4, first 2 shown]
	v_dual_mul_f32 v115, 0xbf6f5d39, v94 :: v_dual_mul_f32 v122, 0xbf6f5d39, v93
	s_delay_alu instid0(VALU_DEP_4)
	v_fmamk_f32 v119, v38, 0x3f116cb1, v116
	v_fmamk_f32 v113, v34, 0x3f116cb1, v106
	v_mul_f32_e32 v104, 0xbf29c268, v70
	v_mul_f32_e32 v98, 0xbf3f9e67, v31
	v_fmamk_f32 v111, v32, 0x3df6dbef, v105
	v_fma_f32 v120, 0xbf788fa5, v30, -v118
	v_mul_f32_e32 v70, 0xbf6f5d39, v70
	v_fmamk_f32 v109, v30, 0xbf3f9e67, v104
	v_mul_f32_e32 v100, 0x3f116cb1, v35
	v_add_f32_e32 v2, v2, v0
	s_delay_alu instid0(VALU_DEP_3) | instskip(SKIP_1) | instid1(VALU_DEP_2)
	v_add_f32_e32 v109, v109, v0
	v_fmamk_f32 v96, v73, 0x3f29c268, v98
	v_dual_add_f32 v2, v20, v2 :: v_dual_add_f32 v109, v111, v109
	s_delay_alu instid0(VALU_DEP_2) | instskip(SKIP_1) | instid1(VALU_DEP_3)
	v_dual_mul_f32 v101, 0xbf788fa5, v38 :: v_dual_add_f32 v96, v96, v1
	v_mul_f32_e32 v99, 0x3df6dbef, v33
	v_add_f32_e32 v109, v113, v109
	v_fmamk_f32 v108, v81, 0x3f52af12, v100
	v_fma_f32 v104, 0xbf3f9e67, v30, -v104
	s_delay_alu instid0(VALU_DEP_4) | instskip(NEXT) | instid1(VALU_DEP_2)
	v_fmamk_f32 v97, v79, 0xbf7e222b, v99
	v_dual_mul_f32 v113, 0xbf29c268, v81 :: v_dual_add_f32 v104, v104, v0
	s_delay_alu instid0(VALU_DEP_2) | instskip(SKIP_2) | instid1(VALU_DEP_3)
	v_dual_add_f32 v96, v97, v96 :: v_dual_mul_f32 v103, 0xbeb58ec6, v45
	v_fmamk_f32 v97, v89, 0xbe750f2a, v101
	v_fmac_f32_e32 v101, 0x3e750f2a, v89
	v_dual_fmac_f32 v99, 0x3f7e222b, v79 :: v_dual_add_f32 v96, v108, v96
	v_mul_f32_e32 v108, 0xbe750f2a, v73
	v_fmamk_f32 v117, v95, 0x3f6f5d39, v103
	v_mul_f32_e32 v102, 0x3f62ad3f, v41
	s_delay_alu instid0(VALU_DEP_4) | instskip(NEXT) | instid1(VALU_DEP_4)
	v_dual_fmac_f32 v103, 0xbf6f5d39, v95 :: v_dual_add_f32 v96, v97, v96
	v_fmamk_f32 v97, v31, 0xbf788fa5, v108
	v_fmac_f32_e32 v98, 0xbf29c268, v73
	s_delay_alu instid0(VALU_DEP_4)
	v_fmamk_f32 v112, v93, 0xbeedf032, v102
	v_mul_f32_e32 v111, 0x3eedf032, v79
	v_fma_f32 v105, 0x3df6dbef, v32, -v105
	v_add_f32_e32 v97, v97, v1
	v_add_f32_e32 v98, v98, v1
	;; [unrolled: 1-line block ×3, first 2 shown]
	v_fmamk_f32 v112, v33, 0x3f62ad3f, v111
	v_dual_mul_f32 v110, 0x3eedf032, v91 :: v_dual_mul_f32 v121, 0x3eedf032, v74
	s_delay_alu instid0(VALU_DEP_4) | instskip(NEXT) | instid1(VALU_DEP_3)
	v_add_f32_e32 v98, v99, v98
	v_dual_mul_f32 v74, 0x3f29c268, v74 :: v_dual_add_f32 v97, v112, v97
	v_fmamk_f32 v112, v35, 0xbf3f9e67, v113
	v_mul_f32_e32 v107, 0x3e750f2a, v87
	v_mul_f32_e32 v89, 0xbf7e222b, v89
	s_delay_alu instid0(VALU_DEP_3) | instskip(NEXT) | instid1(VALU_DEP_3)
	v_add_f32_e32 v112, v112, v97
	v_fmamk_f32 v114, v37, 0xbf788fa5, v107
	v_dual_add_f32 v97, v117, v96 :: v_dual_fmac_f32 v102, 0x3eedf032, v93
	s_delay_alu instid0(VALU_DEP_2) | instskip(SKIP_2) | instid1(VALU_DEP_2)
	v_dual_add_f32 v112, v119, v112 :: v_dual_add_f32 v109, v114, v109
	v_fmamk_f32 v114, v39, 0x3f62ad3f, v110
	v_fmamk_f32 v119, v41, 0xbeb58ec6, v122
	v_add_f32_e32 v109, v114, v109
	v_fmamk_f32 v114, v42, 0xbeb58ec6, v115
	s_delay_alu instid0(VALU_DEP_3) | instskip(SKIP_2) | instid1(VALU_DEP_4)
	v_add_f32_e32 v112, v119, v112
	v_fmac_f32_e32 v100, 0xbf52af12, v81
	v_mul_f32_e32 v117, 0xbf29c268, v80
	v_dual_mul_f32 v119, 0x3f52af12, v87 :: v_dual_add_f32 v96, v114, v109
	v_add_f32_e32 v109, v120, v0
	s_delay_alu instid0(VALU_DEP_4)
	v_add_f32_e32 v98, v100, v98
	v_add_f32_e32 v100, v105, v104
	v_fma_f32 v114, 0x3f62ad3f, v32, -v121
	v_fma_f32 v104, 0x3f116cb1, v34, -v106
	v_fma_f32 v99, 0x3f116cb1, v37, -v119
	v_mul_f32_e32 v80, 0x3eedf032, v80
	v_fmac_f32_e32 v121, 0x3f62ad3f, v32
	v_add_f32_e32 v109, v114, v109
	v_fma_f32 v114, 0xbf3f9e67, v34, -v117
	v_add_f32_e32 v100, v104, v100
	v_add_f32_e32 v98, v101, v98
	v_fma_f32 v101, 0xbf788fa5, v37, -v107
	v_mul_f32_e32 v107, 0xbf6f5d39, v73
	v_dual_add_f32 v109, v114, v109 :: v_dual_mul_f32 v114, 0xbf6f5d39, v91
	s_delay_alu instid0(VALU_DEP_4) | instskip(NEXT) | instid1(VALU_DEP_4)
	v_add_f32_e32 v102, v102, v98
	v_add_f32_e32 v100, v101, v100
	v_fma_f32 v73, 0x3f62ad3f, v39, -v110
	s_delay_alu instid0(VALU_DEP_4) | instskip(SKIP_4) | instid1(VALU_DEP_4)
	v_add_f32_e32 v99, v99, v109
	v_fma_f32 v105, 0xbeb58ec6, v39, -v114
	v_mul_f32_e32 v106, 0x3f7e222b, v95
	v_fma_f32 v109, 0xbf3f9e67, v32, -v74
	v_dual_add_f32 v73, v73, v100 :: v_dual_mul_f32 v104, 0x3f7e222b, v94
	v_dual_add_f32 v105, v105, v99 :: v_dual_fmamk_f32 v110, v38, 0x3df6dbef, v89
	s_delay_alu instid0(VALU_DEP_4) | instskip(SKIP_1) | instid1(VALU_DEP_4)
	v_fmamk_f32 v98, v45, 0x3df6dbef, v106
	v_dual_mul_f32 v95, 0x3f52af12, v95 :: v_dual_mul_f32 v94, 0x3f52af12, v94
	v_fma_f32 v101, 0x3df6dbef, v42, -v104
	s_delay_alu instid0(VALU_DEP_3) | instskip(SKIP_1) | instid1(VALU_DEP_3)
	v_dual_fmac_f32 v118, 0xbf788fa5, v30 :: v_dual_add_f32 v99, v98, v112
	v_dual_mul_f32 v112, 0xbf3f9e67, v37 :: v_dual_fmac_f32 v117, 0xbf3f9e67, v34
	v_dual_add_f32 v98, v101, v105 :: v_dual_fmamk_f32 v105, v31, 0xbeb58ec6, v107
	v_mul_f32_e32 v79, 0x3f29c268, v79
	v_add_f32_e32 v101, v103, v102
	v_fma_f32 v103, 0xbeb58ec6, v42, -v115
	s_delay_alu instid0(VALU_DEP_4) | instskip(SKIP_4) | instid1(VALU_DEP_4)
	v_dual_mul_f32 v87, 0xbf7e222b, v87 :: v_dual_add_f32 v100, v105, v1
	v_fma_f32 v105, 0xbeb58ec6, v30, -v70
	v_fmamk_f32 v102, v33, 0xbf3f9e67, v79
	v_mul_f32_e32 v81, 0x3eedf032, v81
	v_fmac_f32_e32 v119, 0x3f116cb1, v37
	v_add_f32_e32 v105, v105, v0
	s_delay_alu instid0(VALU_DEP_4) | instskip(NEXT) | instid1(VALU_DEP_2)
	v_add_f32_e32 v100, v102, v100
	v_dual_fmamk_f32 v102, v35, 0x3f62ad3f, v81 :: v_dual_add_f32 v105, v109, v105
	v_fma_f32 v109, 0x3f62ad3f, v34, -v80
	s_delay_alu instid0(VALU_DEP_2) | instskip(SKIP_1) | instid1(VALU_DEP_3)
	v_add_f32_e32 v102, v102, v100
	v_add_f32_e32 v100, v103, v73
	v_dual_fmac_f32 v104, 0x3df6dbef, v42 :: v_dual_add_f32 v103, v109, v105
	v_fma_f32 v105, 0x3df6dbef, v37, -v87
	v_mul_f32_e32 v93, 0x3e750f2a, v93
	v_mul_f32_e32 v109, 0x3df6dbef, v31
	v_add_f32_e32 v73, v110, v102
	v_mul_f32_e32 v91, 0x3e750f2a, v91
	v_fmac_f32_e32 v87, 0x3df6dbef, v37
	v_fmamk_f32 v102, v41, 0xbf788fa5, v93
	v_add_f32_e32 v66, v66, v109
	s_delay_alu instid0(VALU_DEP_2) | instskip(SKIP_2) | instid1(VALU_DEP_4)
	v_dual_add_f32 v73, v102, v73 :: v_dual_add_f32 v102, v105, v103
	v_mul_f32_e32 v105, 0xbf788fa5, v33
	v_fma_f32 v103, 0xbf788fa5, v39, -v91
	v_dual_fmamk_f32 v109, v45, 0x3f116cb1, v95 :: v_dual_add_f32 v66, v66, v1
	v_fmac_f32_e32 v91, 0xbf788fa5, v39
	s_delay_alu instid0(VALU_DEP_3) | instskip(SKIP_1) | instid1(VALU_DEP_4)
	v_dual_add_f32 v105, v72, v105 :: v_dual_add_f32 v102, v103, v102
	v_fma_f32 v103, 0x3f116cb1, v42, -v94
	v_add_f32_e32 v73, v109, v73
	v_mul_f32_e32 v109, 0x3f62ad3f, v31
	v_fmac_f32_e32 v94, 0x3f116cb1, v42
	s_delay_alu instid0(VALU_DEP_4) | instskip(SKIP_1) | instid1(VALU_DEP_4)
	v_dual_add_f32 v72, v103, v102 :: v_dual_mul_f32 v103, 0xbeb58ec6, v35
	v_dual_add_f32 v66, v105, v66 :: v_dual_mul_f32 v105, 0xbf788fa5, v32
	v_dual_mul_f32 v102, 0x3f62ad3f, v30 :: v_dual_add_f32 v43, v43, v109
	s_delay_alu instid0(VALU_DEP_3) | instskip(NEXT) | instid1(VALU_DEP_3)
	v_dual_add_f32 v76, v76, v103 :: v_dual_mul_f32 v103, 0x3f62ad3f, v38
	v_sub_f32_e32 v67, v105, v67
	s_delay_alu instid0(VALU_DEP_2) | instskip(NEXT) | instid1(VALU_DEP_3)
	v_dual_add_f32 v43, v43, v1 :: v_dual_add_f32 v82, v82, v103
	v_dual_mul_f32 v103, 0x3f116cb1, v31 :: v_dual_add_f32 v66, v76, v66
	v_mul_f32_e32 v76, 0xbeb58ec6, v34
	v_mul_f32_e32 v110, 0x3df6dbef, v30
	s_delay_alu instid0(VALU_DEP_3) | instskip(SKIP_1) | instid1(VALU_DEP_3)
	v_add_f32_e32 v52, v52, v103
	v_mul_f32_e32 v103, 0x3df6dbef, v35
	v_dual_sub_f32 v71, v76, v71 :: v_dual_sub_f32 v58, v110, v58
	s_delay_alu instid0(VALU_DEP_1) | instskip(NEXT) | instid1(VALU_DEP_1)
	v_dual_mul_f32 v105, 0x3f116cb1, v30 :: v_dual_add_f32 v58, v58, v0
	v_dual_sub_f32 v49, v105, v49 :: v_dual_add_f32 v58, v67, v58
	v_mul_f32_e32 v67, 0x3f116cb1, v41
	s_delay_alu instid0(VALU_DEP_2) | instskip(NEXT) | instid1(VALU_DEP_2)
	v_dual_add_f32 v49, v49, v0 :: v_dual_add_f32 v58, v71, v58
	v_add_f32_e32 v67, v90, v67
	v_dual_mul_f32 v71, 0xbf3f9e67, v45 :: v_dual_add_f32 v66, v82, v66
	s_delay_alu instid0(VALU_DEP_1) | instskip(NEXT) | instid1(VALU_DEP_2)
	v_dual_mul_f32 v76, 0x3f116cb1, v32 :: v_dual_add_f32 v71, v92, v71
	v_dual_add_f32 v66, v67, v66 :: v_dual_mul_f32 v67, 0xbeb58ec6, v33
	v_mul_f32_e32 v82, 0x3f62ad3f, v37
	v_mul_f32_e32 v92, 0x3f116cb1, v39
	s_delay_alu instid0(VALU_DEP_3) | instskip(NEXT) | instid1(VALU_DEP_3)
	v_add_f32_e32 v57, v57, v67
	v_dual_sub_f32 v77, v82, v77 :: v_dual_mul_f32 v82, 0xbeb58ec6, v32
	v_dual_mul_f32 v67, 0xbf788fa5, v34 :: v_dual_add_f32 v52, v52, v1
	s_delay_alu instid0(VALU_DEP_2) | instskip(SKIP_2) | instid1(VALU_DEP_4)
	v_dual_add_f32 v58, v77, v58 :: v_dual_sub_f32 v53, v82, v53
	v_sub_f32_e32 v86, v92, v86
	v_mul_f32_e32 v92, 0xbf3f9e67, v42
	v_dual_mul_f32 v77, 0x3df6dbef, v34 :: v_dual_add_f32 v52, v57, v52
	s_delay_alu instid0(VALU_DEP_3) | instskip(SKIP_1) | instid1(VALU_DEP_1)
	v_dual_add_f32 v49, v53, v49 :: v_dual_add_f32 v86, v86, v58
	v_dual_sub_f32 v53, v67, v56 :: v_dual_mul_f32 v58, 0xbf788fa5, v35
	v_dual_add_f32 v49, v53, v49 :: v_dual_add_f32 v64, v64, v58
	v_add_f32_e32 v58, v71, v66
	v_dual_mul_f32 v66, 0xbf3f9e67, v38 :: v_dual_sub_f32 v53, v112, v63
	v_add_f32_e32 v63, v3, v1
	s_delay_alu instid0(VALU_DEP_2) | instskip(NEXT) | instid1(VALU_DEP_2)
	v_dual_mul_f32 v71, 0xbf3f9e67, v39 :: v_dual_add_f32 v66, v68, v66
	v_dual_mul_f32 v68, 0x3df6dbef, v41 :: v_dual_add_f32 v21, v21, v63
	s_delay_alu instid0(VALU_DEP_4) | instskip(NEXT) | instid1(VALU_DEP_2)
	v_dual_add_f32 v52, v64, v52 :: v_dual_add_f32 v49, v53, v49
	v_dual_add_f32 v68, v75, v68 :: v_dual_mul_f32 v75, 0x3f62ad3f, v45
	v_sub_f32_e32 v88, v92, v88
	v_mul_f32_e32 v92, 0xbeb58ec6, v37
	v_add_f32_e32 v21, v23, v21
	s_delay_alu instid0(VALU_DEP_4) | instskip(NEXT) | instid1(VALU_DEP_4)
	v_dual_add_f32 v67, v78, v75 :: v_dual_mul_f32 v90, 0x3f116cb1, v33
	v_add_f32_e32 v57, v88, v86
	s_delay_alu instid0(VALU_DEP_3) | instskip(SKIP_1) | instid1(VALU_DEP_2)
	v_dual_add_f32 v17, v17, v21 :: v_dual_mul_f32 v82, 0xbf788fa5, v42
	v_add_f32_e32 v21, v22, v2
	v_dual_add_f32 v46, v46, v90 :: v_dual_add_f32 v17, v19, v17
	v_add_f32_e32 v52, v66, v52
	s_delay_alu instid0(VALU_DEP_3) | instskip(NEXT) | instid1(VALU_DEP_2)
	v_add_f32_e32 v16, v16, v21
	v_dual_add_f32 v13, v13, v17 :: v_dual_add_f32 v52, v68, v52
	v_sub_f32_e32 v17, v76, v40
	v_add_f32_e32 v43, v46, v43
	v_add_f32_e32 v46, v48, v103
	v_mul_f32_e32 v64, 0xbf3f9e67, v41
	v_dual_add_f32 v13, v15, v13 :: v_dual_mul_f32 v110, 0xbeb58ec6, v38
	v_add_f32_e32 v3, v67, v52
	s_delay_alu instid0(VALU_DEP_4) | instskip(NEXT) | instid1(VALU_DEP_4)
	v_dual_add_f32 v43, v46, v43 :: v_dual_mul_f32 v56, 0x3f62ad3f, v42
	v_dual_add_f32 v21, v54, v64 :: v_dual_mul_f32 v86, 0x3df6dbef, v39
	s_delay_alu instid0(VALU_DEP_4) | instskip(NEXT) | instid1(VALU_DEP_3)
	v_dual_add_f32 v9, v9, v13 :: v_dual_add_f32 v16, v18, v16
	v_sub_f32_e32 v23, v56, v69
	s_delay_alu instid0(VALU_DEP_2) | instskip(NEXT) | instid1(VALU_DEP_3)
	v_dual_add_f32 v9, v11, v9 :: v_dual_sub_f32 v52, v86, v59
	v_add_f32_e32 v15, v12, v16
	s_delay_alu instid0(VALU_DEP_2) | instskip(NEXT) | instid1(VALU_DEP_2)
	v_add_f32_e32 v5, v5, v9
	v_dual_add_f32 v20, v52, v49 :: v_dual_add_f32 v13, v14, v15
	v_fma_f32 v14, 0xbf788fa5, v31, -v108
	v_add_f32_e32 v22, v51, v110
	s_delay_alu instid0(VALU_DEP_4) | instskip(NEXT) | instid1(VALU_DEP_4)
	v_add_f32_e32 v5, v7, v5
	v_add_f32_e32 v2, v23, v20
	v_sub_f32_e32 v20, v102, v36
	v_add_f32_e32 v8, v8, v13
	v_add_f32_e32 v11, v14, v1
	v_dual_mul_f32 v66, 0xbf788fa5, v45 :: v_dual_add_f32 v19, v22, v43
	s_delay_alu instid0(VALU_DEP_4) | instskip(SKIP_2) | instid1(VALU_DEP_4)
	v_add_f32_e32 v20, v20, v0
	v_fma_f32 v13, 0x3f62ad3f, v33, -v111
	v_add_f32_e32 v5, v29, v5
	v_add_f32_e32 v18, v21, v19
	s_delay_alu instid0(VALU_DEP_4) | instskip(SKIP_4) | instid1(VALU_DEP_4)
	v_add_f32_e32 v16, v17, v20
	v_sub_f32_e32 v17, v77, v44
	v_add_f32_e32 v9, v13, v11
	v_sub_f32_e32 v13, v82, v55
	v_add_f32_e32 v19, v65, v66
	v_dual_add_f32 v15, v17, v16 :: v_dual_sub_f32 v16, v92, v47
	s_delay_alu instid0(VALU_DEP_1) | instskip(NEXT) | instid1(VALU_DEP_1)
	v_dual_add_f32 v14, v16, v15 :: v_dual_sub_f32 v15, v71, v50
	v_add_f32_e32 v11, v15, v14
	s_delay_alu instid0(VALU_DEP_1) | instskip(SKIP_3) | instid1(VALU_DEP_3)
	v_dual_add_f32 v11, v13, v11 :: v_dual_add_f32 v8, v10, v8
	v_fma_f32 v10, 0xbf3f9e67, v35, -v113
	v_add_f32_e32 v12, v19, v18
	v_fma_f32 v13, 0x3f116cb1, v45, -v95
	v_add_f32_e32 v7, v10, v9
	;; [unrolled: 2-line block ×3, first 2 shown]
	v_fma_f32 v8, 0x3f116cb1, v38, -v116
	v_and_b32_e32 v10, 0xffff, v85
	s_delay_alu instid0(VALU_DEP_3) | instskip(NEXT) | instid1(VALU_DEP_3)
	v_dual_add_f32 v1, v9, v1 :: v_dual_add_f32 v4, v6, v4
	v_add_f32_e32 v6, v8, v7
	v_fma_f32 v7, 0xbeb58ec6, v41, -v122
	v_add_f32_e32 v8, v118, v0
	v_fma_f32 v9, 0x3df6dbef, v45, -v106
	v_lshlrev_b32_e32 v10, 3, v10
	s_delay_alu instid0(VALU_DEP_3) | instskip(SKIP_1) | instid1(VALU_DEP_2)
	v_dual_add_f32 v6, v7, v6 :: v_dual_add_f32 v7, v121, v8
	v_fma_f32 v8, 0xbf3f9e67, v33, -v79
	v_add_f32_e32 v7, v117, v7
	s_delay_alu instid0(VALU_DEP_2) | instskip(SKIP_4) | instid1(VALU_DEP_4)
	v_add_f32_e32 v1, v8, v1
	v_fma_f32 v8, 0x3f62ad3f, v35, -v81
	v_fmac_f32_e32 v70, 0xbeb58ec6, v30
	v_fmac_f32_e32 v114, 0xbeb58ec6, v39
	v_dual_add_f32 v7, v119, v7 :: v_dual_add_f32 v4, v28, v4
	v_add_f32_e32 v1, v8, v1
	v_fma_f32 v8, 0x3df6dbef, v38, -v89
	s_delay_alu instid0(VALU_DEP_1) | instskip(SKIP_1) | instid1(VALU_DEP_1)
	v_dual_add_f32 v0, v70, v0 :: v_dual_add_f32 v1, v8, v1
	v_fma_f32 v8, 0xbf788fa5, v41, -v93
	v_dual_add_f32 v8, v8, v1 :: v_dual_add_f32 v1, v9, v6
	v_dual_fmac_f32 v74, 0xbf3f9e67, v32 :: v_dual_add_f32 v7, v114, v7
	v_fmac_f32_e32 v80, 0x3f62ad3f, v34
	s_delay_alu instid0(VALU_DEP_2) | instskip(NEXT) | instid1(VALU_DEP_1)
	v_add_f32_e32 v0, v74, v0
	v_add_f32_e32 v0, v80, v0
	s_delay_alu instid0(VALU_DEP_1) | instskip(NEXT) | instid1(VALU_DEP_1)
	v_add_f32_e32 v0, v87, v0
	v_add_f32_e32 v14, v91, v0
	v_dual_add_f32 v0, v104, v7 :: v_dual_add_f32 v7, v13, v8
	s_delay_alu instid0(VALU_DEP_2)
	v_add_f32_e32 v6, v94, v14
	ds_store_2addr_b64 v10, v[4:5], v[11:12] offset1:1
	ds_store_2addr_b64 v10, v[2:3], v[57:58] offset0:2 offset1:3
	ds_store_2addr_b64 v10, v[72:73], v[100:101] offset0:4 offset1:5
	;; [unrolled: 1-line block ×5, first 2 shown]
	ds_store_b64 v10, v[61:62] offset:96
.LBB0_7:
	s_wait_alu 0xfffe
	s_or_b32 exec_lo, exec_lo, s0
	v_add_nc_u32_e32 v0, 0x1300, v83
	v_add_nc_u32_e32 v4, 0x1e00, v83
	;; [unrolled: 1-line block ×4, first 2 shown]
	global_wb scope:SCOPE_SE
	s_wait_dscnt 0x0
	s_barrier_signal -1
	s_barrier_wait -1
	global_inv scope:SCOPE_SE
	ds_load_2addr_b64 v[8:11], v83 offset1:156
	ds_load_2addr_b64 v[0:3], v0 offset0:16 offset1:250
	ds_load_2addr_b64 v[16:19], v4 offset0:54 offset1:210
	;; [unrolled: 1-line block ×4, first 2 shown]
	v_cmp_gt_u16_e64 s0, 0x4e, v84
	s_delay_alu instid0(VALU_DEP_1)
	s_and_saveexec_b32 s1, s0
	s_cbranch_execz .LBB0_9
; %bb.8:
	ds_load_b64 v[24:25], v83 offset:6240
	ds_load_b64 v[26:27], v83 offset:13104
.LBB0_9:
	s_wait_alu 0xfffe
	s_or_b32 exec_lo, exec_lo, s1
	v_and_b32_e32 v20, 0xff, v84
	v_add_co_u32 v22, null, 0x138, v84
	v_add_co_u32 v23, null, 0x1d4, v84
	s_delay_alu instid0(VALU_DEP_3) | instskip(SKIP_2) | instid1(VALU_DEP_4)
	v_mul_lo_u16 v21, 0x4f, v20
	v_add_nc_u16 v20, v84, 0x9c
	v_add_co_u32 v28, null, 0x270, v84
	v_and_b32_e32 v32, 0xffff, v23
	s_delay_alu instid0(VALU_DEP_4) | instskip(SKIP_1) | instid1(VALU_DEP_3)
	v_lshrrev_b16 v30, 10, v21
	v_add_nc_u16 v29, v84, 0x30c
	v_mul_u32_u24_e32 v32, 0x4ec5, v32
	s_delay_alu instid0(VALU_DEP_3) | instskip(NEXT) | instid1(VALU_DEP_2)
	v_mul_lo_u16 v34, v30, 13
	v_lshrrev_b32_e32 v32, 18, v32
	s_delay_alu instid0(VALU_DEP_2) | instskip(NEXT) | instid1(VALU_DEP_2)
	v_sub_nc_u16 v34, v84, v34
	v_mul_lo_u16 v40, v32, 13
	s_delay_alu instid0(VALU_DEP_2) | instskip(NEXT) | instid1(VALU_DEP_2)
	v_and_b32_e32 v34, 0xff, v34
	v_sub_nc_u16 v23, v23, v40
	s_delay_alu instid0(VALU_DEP_2) | instskip(SKIP_2) | instid1(VALU_DEP_1)
	v_lshlrev_b32_e32 v39, 3, v34
	global_load_b64 v[73:74], v39, s[2:3]
	v_and_b32_e32 v31, 0xffff, v22
	v_mul_u32_u24_e32 v31, 0x4ec5, v31
	s_delay_alu instid0(VALU_DEP_1) | instskip(NEXT) | instid1(VALU_DEP_1)
	v_lshrrev_b32_e32 v31, 18, v31
	v_mul_lo_u16 v38, v31, 13
	s_delay_alu instid0(VALU_DEP_1) | instskip(NEXT) | instid1(VALU_DEP_1)
	v_sub_nc_u16 v22, v22, v38
	v_and_b32_e32 v40, 0xffff, v22
	v_mad_u16 v22, v31, 26, v22
	s_delay_alu instid0(VALU_DEP_2) | instskip(NEXT) | instid1(VALU_DEP_2)
	v_lshlrev_b32_e32 v40, 3, v40
	v_and_b32_e32 v22, 0xffff, v22
	global_load_b64 v[69:70], v40, s[2:3]
	v_and_b32_e32 v21, 0xffff, v20
	v_and_b32_e32 v33, 0xffff, v28
	v_lshlrev_b32_e32 v91, 3, v22
	s_delay_alu instid0(VALU_DEP_3) | instskip(NEXT) | instid1(VALU_DEP_3)
	v_mul_u32_u24_e32 v21, 0x4ec5, v21
	v_mul_u32_u24_e32 v33, 0x4ec5, v33
	s_delay_alu instid0(VALU_DEP_2) | instskip(NEXT) | instid1(VALU_DEP_2)
	v_lshrrev_b32_e32 v36, 18, v21
	v_lshrrev_b32_e32 v33, 18, v33
	s_delay_alu instid0(VALU_DEP_2) | instskip(NEXT) | instid1(VALU_DEP_2)
	v_mul_lo_u16 v37, v36, 13
	v_mul_lo_u16 v38, v33, 13
	s_delay_alu instid0(VALU_DEP_2) | instskip(NEXT) | instid1(VALU_DEP_2)
	v_sub_nc_u16 v37, v20, v37
	v_sub_nc_u16 v28, v28, v38
	v_and_b32_e32 v38, 0xffff, v23
	v_mad_u16 v23, v32, 26, v23
	s_delay_alu instid0(VALU_DEP_4) | instskip(NEXT) | instid1(VALU_DEP_3)
	v_and_b32_e32 v42, 0xffff, v37
	v_lshlrev_b32_e32 v38, 3, v38
	s_delay_alu instid0(VALU_DEP_3) | instskip(SKIP_1) | instid1(VALU_DEP_1)
	v_and_b32_e32 v23, 0xffff, v23
	s_wait_loadcnt_dscnt 0x2
	v_dual_mul_f32 v23, v19, v70 :: v_dual_lshlrev_b32 v90, 3, v23
	v_lshlrev_b32_e32 v39, 3, v42
	global_load_b64 v[75:76], v39, s[2:3]
	s_wait_loadcnt 0x0
	v_dual_mul_f32 v22, v16, v76 :: v_dual_and_b32 v35, 0xffff, v29
	s_delay_alu instid0(VALU_DEP_1) | instskip(NEXT) | instid1(VALU_DEP_2)
	v_mul_u32_u24_e32 v35, 0x4ec5, v35
	v_fmac_f32_e32 v22, v17, v75
	s_delay_alu instid0(VALU_DEP_2) | instskip(NEXT) | instid1(VALU_DEP_1)
	v_lshrrev_b32_e32 v35, 18, v35
	v_mul_lo_u16 v41, v35, 13
	s_delay_alu instid0(VALU_DEP_1) | instskip(SKIP_2) | instid1(VALU_DEP_3)
	v_sub_nc_u16 v29, v29, v41
	v_and_b32_e32 v41, 0xffff, v28
	v_mad_u16 v28, v33, 26, v28
	v_and_b32_e32 v42, 0xffff, v29
	v_mad_u16 v88, v35, 26, v29
	s_delay_alu instid0(VALU_DEP_3) | instskip(NEXT) | instid1(VALU_DEP_3)
	v_and_b32_e32 v28, 0xffff, v28
	v_lshlrev_b32_e32 v40, 3, v42
	s_delay_alu instid0(VALU_DEP_2) | instskip(NEXT) | instid1(VALU_DEP_1)
	v_dual_mul_f32 v28, v18, v70 :: v_dual_lshlrev_b32 v89, 3, v28
	v_fmac_f32_e32 v28, v19, v69
	v_and_b32_e32 v30, 0xffff, v30
	s_delay_alu instid0(VALU_DEP_1) | instskip(NEXT) | instid1(VALU_DEP_1)
	v_mul_u32_u24_e32 v30, 26, v30
	v_add_lshl_u32 v86, v30, v34, 3
	v_mad_u16 v30, v36, 26, v37
	s_delay_alu instid0(VALU_DEP_1) | instskip(SKIP_1) | instid1(VALU_DEP_2)
	v_and_b32_e32 v29, 0xffff, v30
	v_mul_f32_e32 v30, v2, v74
	v_dual_mul_f32 v29, v3, v74 :: v_dual_lshlrev_b32 v92, 3, v29
	s_delay_alu instid0(VALU_DEP_2)
	v_dual_fmac_f32 v30, v3, v73 :: v_dual_mul_f32 v3, v17, v76
	v_fma_f32 v17, v18, v69, -v23
	s_wait_dscnt 0x1
	v_sub_f32_e32 v23, v5, v28
	v_fma_f32 v2, v2, v73, -v29
	v_lshlrev_b32_e32 v39, 3, v41
	v_fma_f32 v16, v16, v75, -v3
	v_sub_f32_e32 v3, v9, v30
	v_fma_f32 v5, v5, 2.0, -v23
	v_sub_f32_e32 v2, v8, v2
	s_clause 0x2
	global_load_b64 v[71:72], v38, s[2:3]
	global_load_b64 v[67:68], v39, s[2:3]
	;; [unrolled: 1-line block ×3, first 2 shown]
	s_load_b128 s[4:7], s[4:5], 0x0
	global_wb scope:SCOPE_SE
	s_wait_loadcnt_dscnt 0x0
	s_wait_kmcnt 0x0
	s_barrier_signal -1
	s_barrier_wait -1
	global_inv scope:SCOPE_SE
	v_mul_f32_e32 v29, v13, v72
	v_mul_f32_e32 v31, v12, v72
	;; [unrolled: 1-line block ×3, first 2 shown]
	v_dual_mul_f32 v33, v14, v68 :: v_dual_mul_f32 v34, v27, v66
	v_mul_f32_e32 v35, v26, v66
	v_fma_f32 v18, v12, v71, -v29
	v_fmac_f32_e32 v31, v13, v71
	v_fma_f32 v19, v14, v67, -v32
	v_fmac_f32_e32 v33, v15, v67
	v_fma_f32 v29, v26, v65, -v34
	v_dual_fmac_f32 v35, v27, v65 :: v_dual_sub_f32 v14, v10, v16
	v_dual_sub_f32 v15, v11, v22 :: v_dual_sub_f32 v22, v4, v17
	v_dual_sub_f32 v16, v6, v18 :: v_dual_sub_f32 v17, v7, v31
	;; [unrolled: 1-line block ×3, first 2 shown]
	s_delay_alu instid0(VALU_DEP_4)
	v_dual_sub_f32 v34, v24, v29 :: v_dual_sub_f32 v35, v25, v35
	v_fma_f32 v12, v8, 2.0, -v2
	v_fma_f32 v13, v9, 2.0, -v3
	;; [unrolled: 1-line block ×11, first 2 shown]
	ds_store_2addr_b64 v86, v[12:13], v[2:3] offset1:13
	ds_store_2addr_b64 v92, v[10:11], v[14:15] offset1:13
	;; [unrolled: 1-line block ×5, first 2 shown]
	s_and_saveexec_b32 s1, s0
	s_cbranch_execz .LBB0_11
; %bb.10:
	v_and_b32_e32 v0, 0xffff, v88
	s_delay_alu instid0(VALU_DEP_1)
	v_lshlrev_b32_e32 v0, 3, v0
	ds_store_2addr_b64 v0, v[38:39], v[34:35] offset1:13
.LBB0_11:
	s_wait_alu 0xfffe
	s_or_b32 exec_lo, exec_lo, s1
	global_wb scope:SCOPE_SE
	s_wait_dscnt 0x0
	s_barrier_signal -1
	s_barrier_wait -1
	global_inv scope:SCOPE_SE
	ds_load_b64 v[10:11], v83
	ds_load_b64 v[36:37], v83 offset:2288
	ds_load_b64 v[32:33], v83 offset:4576
	ds_load_b64 v[30:31], v83 offset:6864
	ds_load_b64 v[28:29], v83 offset:9152
	ds_load_b64 v[24:25], v83 offset:11440
	v_cmp_gt_u16_e64 s1, 0x82, v84
	s_delay_alu instid0(VALU_DEP_1)
	s_and_saveexec_b32 s10, s1
	s_cbranch_execz .LBB0_13
; %bb.12:
	ds_load_b64 v[8:9], v83 offset:1248
	ds_load_b64 v[16:17], v83 offset:3536
	;; [unrolled: 1-line block ×6, first 2 shown]
.LBB0_13:
	s_wait_alu 0xfffe
	s_or_b32 exec_lo, exec_lo, s10
	v_lshrrev_b32_e32 v40, 19, v21
	v_and_b32_e32 v0, 0xff, v84
	s_delay_alu instid0(VALU_DEP_2) | instskip(NEXT) | instid1(VALU_DEP_2)
	v_mul_lo_u16 v1, v40, 26
	v_mul_lo_u16 v0, 0x4f, v0
	s_delay_alu instid0(VALU_DEP_2) | instskip(NEXT) | instid1(VALU_DEP_2)
	v_sub_nc_u16 v41, v20, v1
	v_lshrrev_b16 v42, 11, v0
	s_delay_alu instid0(VALU_DEP_2) | instskip(NEXT) | instid1(VALU_DEP_2)
	v_mul_lo_u16 v0, v41, 40
	v_mul_lo_u16 v1, v42, 26
	v_mad_u16 v87, 0x9c, v40, v41
	s_delay_alu instid0(VALU_DEP_3) | instskip(NEXT) | instid1(VALU_DEP_3)
	v_and_b32_e32 v0, 0xffff, v0
	v_sub_nc_u16 v1, v84, v1
	s_delay_alu instid0(VALU_DEP_2) | instskip(SKIP_2) | instid1(VALU_DEP_3)
	v_add_co_u32 v4, s10, s2, v0
	s_wait_alu 0xf1ff
	v_add_co_ci_u32_e64 v5, null, s3, 0, s10
	v_and_b32_e32 v43, 0xff, v1
	s_clause 0x1
	global_load_b128 v[0:3], v[4:5], off offset:120
	global_load_b64 v[63:64], v[4:5], off offset:136
	v_and_b32_e32 v42, 0xffff, v42
	s_wait_loadcnt_dscnt 0x101
	v_mul_f32_e32 v44, v39, v3
	s_wait_loadcnt_dscnt 0x0
	v_mul_f32_e32 v45, v35, v64
	v_mad_co_u64_u32 v[6:7], null, v43, 40, s[2:3]
	v_mul_u32_u24_e32 v42, 0x9c, v42
	v_mul_f32_e32 v41, v34, v64
	s_clause 0x3
	global_load_b128 v[20:23], v[6:7], off offset:104
	global_load_b128 v[12:15], v[6:7], off offset:120
	global_load_b64 v[77:78], v[6:7], off offset:136
	global_load_b128 v[4:7], v[4:5], off offset:104
	v_add_lshl_u32 v93, v42, v43, 3
	v_mul_f32_e32 v42, v27, v1
	v_mul_f32_e32 v43, v26, v1
	;; [unrolled: 1-line block ×3, first 2 shown]
	v_fmac_f32_e32 v41, v35, v63
	global_wb scope:SCOPE_SE
	s_wait_loadcnt 0x0
	v_fma_f32 v42, v26, v0, -v42
	v_fmac_f32_e32 v43, v27, v0
	v_fma_f32 v27, v38, v2, -v44
	v_fmac_f32_e32 v40, v39, v2
	v_fma_f32 v26, v34, v63, -v45
	s_barrier_signal -1
	v_add_f32_e32 v57, v43, v41
	v_sub_f32_e32 v45, v43, v41
	s_barrier_wait -1
	v_sub_f32_e32 v44, v42, v26
	v_add_f32_e32 v56, v42, v26
	global_inv scope:SCOPE_SE
	v_dual_mul_f32 v46, v33, v23 :: v_dual_mul_f32 v49, v30, v13
	v_dual_mul_f32 v38, v37, v21 :: v_dual_mul_f32 v47, v32, v23
	v_mul_f32_e32 v39, v36, v21
	v_dual_mul_f32 v48, v31, v13 :: v_dual_mul_f32 v51, v28, v15
	v_dual_mul_f32 v50, v29, v15 :: v_dual_mul_f32 v53, v24, v78
	;; [unrolled: 1-line block ×3, first 2 shown]
	s_delay_alu instid0(VALU_DEP_4)
	v_dual_mul_f32 v34, v16, v5 :: v_dual_fmac_f32 v39, v37, v20
	v_fma_f32 v32, v32, v22, -v46
	v_dual_mul_f32 v54, v17, v5 :: v_dual_mul_f32 v35, v18, v7
	v_fma_f32 v38, v36, v20, -v38
	v_fmac_f32_e32 v47, v33, v22
	v_fma_f32 v30, v30, v12, -v48
	v_fma_f32 v28, v28, v14, -v50
	;; [unrolled: 1-line block ×3, first 2 shown]
	v_fmac_f32_e32 v53, v25, v77
	v_dual_fmac_f32 v34, v17, v4 :: v_dual_fmac_f32 v35, v19, v6
	v_fma_f32 v17, v18, v6, -v55
	v_fmac_f32_e32 v49, v31, v12
	v_dual_add_f32 v18, v10, v32 :: v_dual_fmac_f32 v51, v29, v14
	v_add_f32_e32 v36, v11, v47
	v_fma_f32 v16, v16, v4, -v54
	v_sub_f32_e32 v46, v32, v28
	s_delay_alu instid0(VALU_DEP_4)
	v_dual_add_f32 v48, v30, v24 :: v_dual_sub_f32 v33, v47, v51
	v_add_f32_e32 v37, v47, v51
	v_dual_add_f32 v54, v17, v27 :: v_dual_add_f32 v25, v32, v28
	v_dual_sub_f32 v50, v49, v53 :: v_dual_add_f32 v47, v38, v30
	v_add_f32_e32 v52, v39, v49
	v_dual_add_f32 v49, v49, v53 :: v_dual_add_f32 v28, v18, v28
	v_fma_f32 v29, -0.5, v56, v16
	v_sub_f32_e32 v30, v30, v24
	v_add_f32_e32 v55, v35, v40
	v_fma_f32 v19, -0.5, v57, v34
	v_fma_f32 v56, -0.5, v25, v10
	v_dual_add_f32 v10, v36, v51 :: v_dual_fmac_f32 v11, -0.5, v37
	v_add_f32_e32 v24, v47, v24
	v_dual_fmac_f32 v38, -0.5, v48 :: v_dual_add_f32 v47, v52, v53
	s_delay_alu instid0(VALU_DEP_4)
	v_dual_fmac_f32 v39, -0.5, v49 :: v_dual_fmamk_f32 v52, v33, 0x3f5db3d7, v56
	v_dual_fmamk_f32 v48, v45, 0xbf5db3d7, v29 :: v_dual_sub_f32 v31, v35, v40
	v_sub_f32_e32 v32, v17, v27
	v_fma_f32 v25, -0.5, v55, v9
	v_dual_fmac_f32 v56, 0xbf5db3d7, v33 :: v_dual_fmamk_f32 v33, v46, 0xbf5db3d7, v11
	v_dual_fmac_f32 v11, 0x3f5db3d7, v46 :: v_dual_add_f32 v36, v28, v24
	v_dual_fmamk_f32 v51, v50, 0x3f5db3d7, v38 :: v_dual_sub_f32 v46, v28, v24
	v_fmac_f32_e32 v38, 0xbf5db3d7, v50
	v_fmamk_f32 v50, v30, 0xbf5db3d7, v39
	v_add_f32_e32 v37, v10, v47
	s_delay_alu instid0(VALU_DEP_4) | instskip(SKIP_4) | instid1(VALU_DEP_4)
	v_mul_f32_e32 v55, 0xbf5db3d7, v51
	v_dual_fmamk_f32 v49, v44, 0x3f5db3d7, v19 :: v_dual_mul_f32 v24, -0.5, v48
	v_fma_f32 v18, -0.5, v54, v8
	v_fmac_f32_e32 v39, 0x3f5db3d7, v30
	v_dual_fmamk_f32 v28, v32, 0x3f5db3d7, v25 :: v_dual_mul_f32 v53, 0x3f5db3d7, v50
	v_dual_mul_f32 v30, -0.5, v49 :: v_dual_sub_f32 v47, v10, v47
	s_delay_alu instid0(VALU_DEP_3) | instskip(NEXT) | instid1(VALU_DEP_3)
	v_dual_fmamk_f32 v10, v31, 0xbf5db3d7, v18 :: v_dual_mul_f32 v57, -0.5, v39
	v_dual_mul_f32 v54, -0.5, v38 :: v_dual_fmac_f32 v53, 0.5, v51
	v_dual_fmac_f32 v24, 0x3f5db3d7, v49 :: v_dual_fmac_f32 v55, 0.5, v50
	s_delay_alu instid0(VALU_DEP_3) | instskip(NEXT) | instid1(VALU_DEP_3)
	v_dual_fmac_f32 v30, 0xbf5db3d7, v48 :: v_dual_fmac_f32 v57, 0xbf5db3d7, v38
	v_fmac_f32_e32 v54, 0x3f5db3d7, v39
	s_delay_alu instid0(VALU_DEP_3) | instskip(SKIP_1) | instid1(VALU_DEP_4)
	v_dual_sub_f32 v38, v10, v24 :: v_dual_add_f32 v49, v33, v55
	v_add_f32_e32 v48, v52, v53
	v_sub_f32_e32 v39, v28, v30
	s_delay_alu instid0(VALU_DEP_4)
	v_dual_add_f32 v51, v11, v57 :: v_dual_add_f32 v50, v56, v54
	v_sub_f32_e32 v52, v52, v53
	v_dual_sub_f32 v54, v56, v54 :: v_dual_sub_f32 v53, v33, v55
	v_sub_f32_e32 v55, v11, v57
	ds_store_2addr_b64 v93, v[36:37], v[48:49] offset1:26
	ds_store_2addr_b64 v93, v[50:51], v[46:47] offset0:52 offset1:78
	ds_store_2addr_b64 v93, v[52:53], v[54:55] offset0:104 offset1:130
	s_and_saveexec_b32 s10, s1
	s_cbranch_execz .LBB0_15
; %bb.14:
	v_dual_mul_f32 v33, 0x3f5db3d7, v44 :: v_dual_add_f32 v16, v16, v42
	v_dual_mul_f32 v11, 0x3f5db3d7, v45 :: v_dual_mul_f32 v32, 0x3f5db3d7, v32
	v_dual_mul_f32 v31, 0x3f5db3d7, v31 :: v_dual_add_f32 v8, v8, v17
	s_delay_alu instid0(VALU_DEP_3) | instskip(SKIP_1) | instid1(VALU_DEP_4)
	v_sub_f32_e32 v17, v19, v33
	v_add_f32_e32 v9, v9, v35
	v_add_f32_e32 v29, v11, v29
	v_dual_add_f32 v11, v34, v43 :: v_dual_add_f32 v16, v16, v26
	s_delay_alu instid0(VALU_DEP_4) | instskip(NEXT) | instid1(VALU_DEP_2)
	v_dual_mul_f32 v34, 0x3f5db3d7, v17 :: v_dual_sub_f32 v25, v25, v32
	v_dual_add_f32 v32, v9, v40 :: v_dual_add_f32 v33, v11, v41
	s_delay_alu instid0(VALU_DEP_2) | instskip(NEXT) | instid1(VALU_DEP_1)
	v_dual_add_f32 v31, v31, v18 :: v_dual_fmac_f32 v34, 0.5, v29
	v_dual_add_f32 v27, v8, v27 :: v_dual_add_f32 v18, v31, v34
	s_delay_alu instid0(VALU_DEP_1) | instskip(NEXT) | instid1(VALU_DEP_1)
	v_dual_mul_f32 v19, 0x3f5db3d7, v29 :: v_dual_sub_f32 v8, v27, v16
	v_fma_f32 v19, v17, 0.5, -v19
	v_dual_add_f32 v17, v28, v30 :: v_dual_and_b32 v28, 0xffff, v87
	s_delay_alu instid0(VALU_DEP_2) | instskip(SKIP_2) | instid1(VALU_DEP_4)
	v_sub_f32_e32 v11, v25, v19
	v_add_f32_e32 v19, v25, v19
	v_add_f32_e32 v25, v27, v16
	v_lshlrev_b32_e32 v27, 3, v28
	v_add_f32_e32 v16, v10, v24
	v_add_f32_e32 v26, v32, v33
	v_dual_sub_f32 v9, v32, v33 :: v_dual_sub_f32 v10, v31, v34
	ds_store_2addr_b64 v27, v[25:26], v[18:19] offset1:26
	ds_store_2addr_b64 v27, v[16:17], v[8:9] offset0:52 offset1:78
	ds_store_2addr_b64 v27, v[10:11], v[38:39] offset0:104 offset1:130
.LBB0_15:
	s_wait_alu 0xfffe
	s_or_b32 exec_lo, exec_lo, s10
	v_mad_co_u64_u32 v[24:25], null, 0x50, v84, s[2:3]
	global_wb scope:SCOPE_SE
	s_wait_dscnt 0x0
	s_barrier_signal -1
	s_barrier_wait -1
	global_inv scope:SCOPE_SE
	s_clause 0x4
	global_load_b128 v[32:35], v[24:25], off offset:1144
	global_load_b128 v[28:31], v[24:25], off offset:1160
	;; [unrolled: 1-line block ×5, first 2 shown]
	v_add_nc_u32_e32 v79, 0x800, v83
	ds_load_2addr_b64 v[40:43], v83 offset1:156
	ds_load_2addr_b64 v[56:59], v79 offset0:56 offset1:212
	v_add_nc_u32_e32 v44, 0x1800, v83
	v_add_nc_u32_e32 v45, 0x2000, v83
	ds_load_b64 v[36:37], v83 offset:4992
	s_wait_loadcnt_dscnt 0x402
	v_dual_mul_f32 v94, v42, v33 :: v_dual_add_nc_u32 v81, 0x2400, v83
	s_wait_loadcnt_dscnt 0x301
	v_mul_f32_e32 v98, v58, v29
	v_mul_f32_e32 v97, v59, v29
	ds_load_2addr_b64 v[52:55], v44 offset0:12 offset1:168
	v_add_nc_u32_e32 v44, 0x2a00, v83
	v_dual_mul_f32 v95, v57, v35 :: v_dual_mul_f32 v82, v43, v33
	s_delay_alu instid0(VALU_DEP_1)
	v_fma_f32 v42, v42, v32, -v82
	s_wait_loadcnt_dscnt 0x200
	v_mul_f32_e32 v102, v52, v17
	v_mul_f32_e32 v101, v53, v17
	ds_load_2addr_b64 v[48:51], v45 offset0:68 offset1:224
	ds_load_2addr_b64 v[44:47], v44 offset0:60 offset1:216
	v_mul_f32_e32 v96, v56, v35
	v_mul_f32_e32 v99, v37, v31
	v_add_nc_u32_e32 v80, 0x1c00, v83
	s_wait_loadcnt_dscnt 0x101
	v_dual_mul_f32 v103, v55, v19 :: v_dual_mul_f32 v106, v48, v9
	s_wait_loadcnt_dscnt 0x0
	v_mul_f32_e32 v110, v44, v25
	v_mul_f32_e32 v109, v45, v25
	v_dual_mul_f32 v107, v51, v11 :: v_dual_fmac_f32 v96, v57, v34
	v_mul_f32_e32 v105, v49, v9
	v_fmac_f32_e32 v106, v49, v8
	v_fmac_f32_e32 v94, v43, v32
	v_mul_f32_e32 v100, v36, v31
	v_fma_f32 v43, v56, v34, -v95
	v_fma_f32 v56, v58, v28, -v97
	;; [unrolled: 1-line block ×3, first 2 shown]
	v_mul_f32_e32 v112, v46, v27
	v_mul_f32_e32 v108, v50, v11
	v_fma_f32 v50, v44, v24, -v109
	v_fmac_f32_e32 v110, v45, v24
	v_add_f32_e32 v45, v41, v94
	v_dual_mul_f32 v111, v47, v27 :: v_dual_fmac_f32 v100, v37, v30
	v_dual_fmac_f32 v98, v59, v28 :: v_dual_add_f32 v59, v56, v49
	v_fmac_f32_e32 v112, v47, v26
	v_mul_f32_e32 v104, v54, v19
	v_fma_f32 v36, v36, v30, -v99
	v_fma_f32 v37, v52, v16, -v101
	;; [unrolled: 1-line block ×3, first 2 shown]
	v_add_f32_e32 v44, v40, v42
	v_sub_f32_e32 v57, v43, v50
	v_add_f32_e32 v99, v100, v106
	v_dual_fmac_f32 v108, v51, v10 :: v_dual_sub_f32 v51, v94, v112
	v_fma_f32 v48, v48, v8, -v105
	v_add_f32_e32 v105, v37, v52
	v_dual_fmac_f32 v102, v53, v16 :: v_dual_add_f32 v53, v43, v50
	v_dual_add_f32 v43, v44, v43 :: v_dual_add_f32 v44, v45, v96
	v_mul_f32_e32 v117, 0xbf4178ce, v51
	v_mul_f32_e32 v45, 0xbf0a6770, v51
	v_sub_f32_e32 v103, v100, v106
	v_dual_sub_f32 v95, v98, v108 :: v_dual_fmac_f32 v104, v55, v18
	v_add_f32_e32 v47, v94, v112
	v_fma_f32 v55, v46, v26, -v111
	v_dual_add_f32 v82, v98, v108 :: v_dual_mul_f32 v115, 0xbf7d64f0, v51
	s_delay_alu instid0(VALU_DEP_4) | instskip(NEXT) | instid1(VALU_DEP_3)
	v_dual_sub_f32 v94, v56, v49 :: v_dual_sub_f32 v111, v102, v104
	v_dual_add_f32 v46, v42, v55 :: v_dual_add_f32 v97, v36, v48
	v_dual_sub_f32 v42, v42, v55 :: v_dual_sub_f32 v101, v36, v48
	v_sub_f32_e32 v109, v37, v52
	v_dual_mul_f32 v113, 0xbf68dda4, v51 :: v_dual_add_f32 v54, v96, v110
	v_dual_add_f32 v107, v102, v104 :: v_dual_sub_f32 v58, v96, v110
	s_delay_alu instid0(VALU_DEP_4)
	v_dual_mul_f32 v96, 0xbf0a6770, v42 :: v_dual_mul_f32 v133, 0xbf0a6770, v95
	v_dual_mul_f32 v114, 0xbf68dda4, v42 :: v_dual_add_f32 v43, v43, v56
	v_dual_mul_f32 v116, 0xbf7d64f0, v42 :: v_dual_mul_f32 v127, 0xbf7d64f0, v95
	v_mul_f32_e32 v118, 0xbf4178ce, v42
	v_dual_mul_f32 v51, 0xbe903f40, v51 :: v_dual_mul_f32 v42, 0xbe903f40, v42
	v_dual_mul_f32 v119, 0xbf68dda4, v58 :: v_dual_mul_f32 v120, 0xbf68dda4, v57
	;; [unrolled: 1-line block ×6, first 2 shown]
	v_mul_f32_e32 v128, 0xbf7d64f0, v94
	v_dual_mul_f32 v129, 0x3e903f40, v95 :: v_dual_mul_f32 v130, 0x3e903f40, v94
	v_dual_mul_f32 v131, 0x3f68dda4, v95 :: v_dual_mul_f32 v132, 0x3f68dda4, v94
	v_dual_mul_f32 v134, 0xbf0a6770, v94 :: v_dual_mul_f32 v139, 0xbf0a6770, v103
	v_dual_mul_f32 v95, 0xbf4178ce, v95 :: v_dual_mul_f32 v94, 0xbf4178ce, v94
	v_dual_mul_f32 v135, 0xbf4178ce, v103 :: v_dual_mul_f32 v136, 0xbf4178ce, v101
	v_mul_f32_e32 v147, 0xbf4178ce, v111
	v_dual_mul_f32 v137, 0x3f7d64f0, v103 :: v_dual_mul_f32 v138, 0x3f7d64f0, v101
	v_dual_mul_f32 v141, 0xbe903f40, v103 :: v_dual_mul_f32 v142, 0xbe903f40, v101
	;; [unrolled: 1-line block ×5, first 2 shown]
	v_add_f32_e32 v44, v44, v98
	v_fma_f32 v56, 0x3f575c64, v46, -v45
	v_mul_f32_e32 v149, 0x3f68dda4, v111
	v_mul_f32_e32 v111, 0xbf7d64f0, v111
	v_dual_fmamk_f32 v98, v47, 0x3f575c64, v96 :: v_dual_fmac_f32 v45, 0x3f575c64, v46
	v_fma_f32 v96, 0x3f575c64, v47, -v96
	v_fma_f32 v151, 0x3ed4b147, v46, -v113
	v_mul_f32_e32 v140, 0xbf0a6770, v101
	v_mul_f32_e32 v101, 0x3f68dda4, v101
	v_dual_fmamk_f32 v152, v47, 0x3ed4b147, v114 :: v_dual_fmac_f32 v113, 0x3ed4b147, v46
	v_mul_f32_e32 v148, 0xbf4178ce, v109
	v_dual_mul_f32 v109, 0xbf7d64f0, v109 :: v_dual_add_f32 v98, v41, v98
	v_fma_f32 v153, 0xbe11bafb, v46, -v115
	v_dual_fmamk_f32 v154, v47, 0xbe11bafb, v116 :: v_dual_fmac_f32 v115, 0xbe11bafb, v46
	v_fma_f32 v114, 0x3ed4b147, v47, -v114
	v_fma_f32 v116, 0xbe11bafb, v47, -v116
	v_fma_f32 v155, 0xbf27a4f4, v46, -v117
	v_dual_fmamk_f32 v156, v47, 0xbf27a4f4, v118 :: v_dual_fmac_f32 v117, 0xbf27a4f4, v46
	v_fma_f32 v118, 0xbf27a4f4, v47, -v118
	v_fma_f32 v157, 0xbf75a155, v46, -v51
	v_dual_fmamk_f32 v158, v47, 0xbf75a155, v42 :: v_dual_fmac_f32 v51, 0xbf75a155, v46
	v_fma_f32 v42, 0xbf75a155, v47, -v42
	v_fma_f32 v46, 0x3ed4b147, v53, -v119
	v_dual_fmamk_f32 v47, v54, 0x3ed4b147, v120 :: v_dual_add_f32 v96, v41, v96
	v_dual_fmac_f32 v119, 0x3ed4b147, v53 :: v_dual_fmamk_f32 v170, v82, 0x3ed4b147, v132
	v_fma_f32 v120, 0x3ed4b147, v54, -v120
	v_fma_f32 v159, 0xbf27a4f4, v53, -v121
	v_dual_fmamk_f32 v160, v54, 0xbf27a4f4, v122 :: v_dual_fmac_f32 v121, 0xbf27a4f4, v53
	v_fma_f32 v122, 0xbf27a4f4, v54, -v122
	v_fma_f32 v161, 0xbf75a155, v53, -v123
	v_dual_fmamk_f32 v162, v54, 0xbf75a155, v124 :: v_dual_fmac_f32 v123, 0xbf75a155, v53
	;; [unrolled: 3-line block ×3, first 2 shown]
	v_fma_f32 v126, 0xbe11bafb, v54, -v126
	v_fma_f32 v165, 0x3f575c64, v53, -v58
	v_dual_fmamk_f32 v166, v54, 0x3f575c64, v57 :: v_dual_add_f32 v45, v40, v45
	v_fmac_f32_e32 v58, 0x3f575c64, v53
	v_fma_f32 v53, 0x3f575c64, v54, -v57
	v_fma_f32 v54, 0xbe11bafb, v59, -v127
	v_dual_fmamk_f32 v57, v82, 0xbe11bafb, v128 :: v_dual_add_f32 v114, v41, v114
	v_dual_fmac_f32 v127, 0xbe11bafb, v59 :: v_dual_fmamk_f32 v176, v99, 0xbe11bafb, v138
	v_fma_f32 v128, 0xbe11bafb, v82, -v128
	v_fma_f32 v167, 0xbf75a155, v59, -v129
	v_dual_fmamk_f32 v168, v82, 0xbf75a155, v130 :: v_dual_fmac_f32 v129, 0xbf75a155, v59
	v_fma_f32 v130, 0xbf75a155, v82, -v130
	v_fma_f32 v169, 0x3ed4b147, v59, -v131
	v_dual_fmac_f32 v131, 0x3ed4b147, v59 :: v_dual_fmamk_f32 v188, v107, 0x3ed4b147, v150
	v_fma_f32 v132, 0x3ed4b147, v82, -v132
	v_fma_f32 v171, 0x3f575c64, v59, -v133
	v_dual_fmamk_f32 v172, v82, 0x3f575c64, v134 :: v_dual_fmac_f32 v133, 0x3f575c64, v59
	v_fma_f32 v134, 0x3f575c64, v82, -v134
	v_fma_f32 v173, 0xbf27a4f4, v59, -v95
	v_dual_fmamk_f32 v174, v82, 0xbf27a4f4, v94 :: v_dual_fmac_f32 v95, 0xbf27a4f4, v59
	;; [unrolled: 3-line block ×3, first 2 shown]
	v_fma_f32 v136, 0xbf27a4f4, v99, -v136
	v_fma_f32 v175, 0xbe11bafb, v97, -v137
	v_dual_fmac_f32 v137, 0xbe11bafb, v97 :: v_dual_add_f32 v116, v41, v116
	v_fma_f32 v138, 0xbe11bafb, v99, -v138
	v_fma_f32 v177, 0x3f575c64, v97, -v139
	v_dual_fmamk_f32 v178, v99, 0x3f575c64, v140 :: v_dual_fmac_f32 v139, 0x3f575c64, v97
	v_fma_f32 v140, 0x3f575c64, v99, -v140
	v_fma_f32 v179, 0xbf75a155, v97, -v141
	v_dual_fmamk_f32 v180, v99, 0xbf75a155, v142 :: v_dual_fmac_f32 v141, 0xbf75a155, v97
	v_fma_f32 v142, 0xbf75a155, v99, -v142
	v_fma_f32 v181, 0x3ed4b147, v97, -v103
	v_fmac_f32_e32 v103, 0x3ed4b147, v97
	v_fmamk_f32 v97, v99, 0x3ed4b147, v101
	v_fma_f32 v99, 0x3ed4b147, v99, -v101
	v_fma_f32 v101, 0xbf75a155, v105, -v143
	v_dual_fmac_f32 v143, 0xbf75a155, v105 :: v_dual_add_f32 v118, v41, v118
	v_fma_f32 v182, 0x3f575c64, v105, -v145
	v_fmac_f32_e32 v145, 0x3f575c64, v105
	v_fma_f32 v183, 0xbf27a4f4, v105, -v147
	v_dual_fmac_f32 v147, 0xbf27a4f4, v105 :: v_dual_add_f32 v36, v43, v36
	v_fma_f32 v185, 0xbe11bafb, v105, -v111
	v_fmac_f32_e32 v111, 0xbe11bafb, v105
	v_dual_fmamk_f32 v186, v107, 0x3f575c64, v146 :: v_dual_add_f32 v113, v40, v113
	v_fma_f32 v146, 0x3f575c64, v107, -v146
	v_dual_fmamk_f32 v187, v107, 0xbf27a4f4, v148 :: v_dual_add_f32 v36, v36, v37
	v_fma_f32 v148, 0xbf27a4f4, v107, -v148
	v_fma_f32 v150, 0x3ed4b147, v107, -v150
	v_add_f32_e32 v56, v40, v56
	v_fma_f32 v184, 0x3ed4b147, v105, -v149
	v_fmac_f32_e32 v149, 0x3ed4b147, v105
	v_fmamk_f32 v105, v107, 0xbf75a155, v144
	v_fma_f32 v144, 0xbf75a155, v107, -v144
	v_fmamk_f32 v189, v107, 0xbe11bafb, v109
	v_fma_f32 v107, 0xbe11bafb, v107, -v109
	v_add_f32_e32 v109, v40, v151
	v_dual_add_f32 v151, v41, v152 :: v_dual_add_f32 v152, v40, v153
	v_add_f32_e32 v153, v41, v154
	v_add_f32_e32 v43, v44, v100
	v_add_f32_e32 v115, v40, v115
	v_dual_add_f32 v154, v40, v155 :: v_dual_add_f32 v155, v41, v156
	v_add_f32_e32 v117, v40, v117
	v_add_f32_e32 v156, v40, v157
	;; [unrolled: 4-line block ×3, first 2 shown]
	v_dual_add_f32 v100, v162, v153 :: v_dual_add_f32 v37, v43, v102
	v_dual_add_f32 v43, v47, v98 :: v_dual_add_f32 v44, v166, v44
	v_add_f32_e32 v45, v119, v45
	v_dual_add_f32 v47, v159, v109 :: v_dual_add_f32 v40, v58, v40
	v_dual_add_f32 v51, v160, v151 :: v_dual_add_f32 v42, v54, v42
	v_add_f32_e32 v56, v121, v113
	v_add_f32_e32 v96, v122, v114
	v_add_f32_e32 v98, v161, v152
	v_dual_add_f32 v102, v123, v115 :: v_dual_add_f32 v109, v124, v116
	v_dual_add_f32 v113, v163, v154 :: v_dual_add_f32 v36, v36, v52
	;; [unrolled: 1-line block ×3, first 2 shown]
	v_add_f32_e32 v46, v128, v46
	v_dual_add_f32 v116, v126, v118 :: v_dual_add_f32 v41, v53, v41
	v_add_f32_e32 v37, v37, v104
	v_add_f32_e32 v43, v57, v43
	v_dual_add_f32 v45, v127, v45 :: v_dual_add_f32 v52, v129, v56
	v_add_f32_e32 v47, v167, v47
	v_dual_add_f32 v53, v130, v96 :: v_dual_add_f32 v54, v169, v98
	v_dual_add_f32 v117, v165, v156 :: v_dual_add_f32 v58, v132, v109
	;; [unrolled: 1-line block ×4, first 2 shown]
	v_add_f32_e32 v96, v171, v113
	v_add_f32_e32 v98, v172, v114
	;; [unrolled: 1-line block ×4, first 2 shown]
	v_dual_add_f32 v40, v95, v40 :: v_dual_add_f32 v37, v37, v106
	v_dual_add_f32 v41, v59, v41 :: v_dual_add_f32 v36, v36, v48
	v_add_f32_e32 v104, v173, v117
	v_dual_add_f32 v42, v82, v42 :: v_dual_add_f32 v45, v135, v45
	v_dual_add_f32 v43, v94, v43 :: v_dual_add_f32 v46, v136, v46
	v_add_f32_e32 v47, v175, v47
	v_dual_add_f32 v48, v176, v51 :: v_dual_add_f32 v51, v137, v52
	v_add_f32_e32 v52, v138, v53
	v_dual_add_f32 v94, v140, v58 :: v_dual_add_f32 v95, v179, v96
	v_dual_add_f32 v96, v180, v98 :: v_dual_add_f32 v103, v103, v40
	;; [unrolled: 1-line block ×8, first 2 shown]
	v_add_f32_e32 v36, v143, v45
	s_delay_alu instid0(VALU_DEP_4)
	v_dual_add_f32 v56, v182, v47 :: v_dual_add_f32 v59, v187, v54
	v_dual_add_f32 v47, v146, v52 :: v_dual_add_f32 v52, v184, v95
	v_add_f32_e32 v41, v41, v110
	v_add_f32_e32 v40, v40, v50
	v_dual_add_f32 v42, v101, v42 :: v_dual_add_f32 v57, v186, v48
	v_dual_add_f32 v46, v145, v51 :: v_dual_add_f32 v45, v148, v94
	;; [unrolled: 1-line block ×5, first 2 shown]
	v_add_f32_e32 v54, v185, v102
	v_dual_add_f32 v41, v41, v112 :: v_dual_add_f32 v40, v40, v55
	v_dual_add_f32 v55, v189, v97 :: v_dual_add_f32 v48, v111, v103
	ds_store_2addr_b64 v79, v[56:57], v[58:59] offset0:56 offset1:212
	ds_store_2addr_b64 v83, v[40:41], v[42:43] offset1:156
	ds_store_b64 v83, v[52:53] offset:4992
	ds_store_b64 v83, v[54:55] offset:6240
	ds_store_2addr_b64 v80, v[48:49], v[50:51] offset0:40 offset1:196
	ds_store_2addr_b64 v81, v[44:45], v[46:47] offset0:96 offset1:252
	ds_store_b64 v83, v[36:37] offset:12480
	global_wb scope:SCOPE_SE
	s_wait_dscnt 0x0
	s_barrier_signal -1
	s_barrier_wait -1
	global_inv scope:SCOPE_SE
	s_and_saveexec_b32 s10, vcc_lo
	s_cbranch_execz .LBB0_17
; %bb.16:
	global_load_b64 v[94:95], v83, s[8:9] offset:13728
	s_add_nc_u64 s[2:3], s[8:9], 0x35a0
	s_clause 0xb
	global_load_b64 v[118:119], v83, s[2:3] offset:1056
	global_load_b64 v[120:121], v83, s[2:3] offset:2112
	;; [unrolled: 1-line block ×12, first 2 shown]
	ds_load_b64 v[96:97], v83
	v_add_nc_u32_e32 v143, 0x1400, v83
	v_add_nc_u32_e32 v82, 0xc00, v83
	s_wait_loadcnt_dscnt 0xc00
	v_mul_f32_e32 v79, v97, v95
	v_mul_f32_e32 v99, v96, v95
	s_delay_alu instid0(VALU_DEP_2) | instskip(NEXT) | instid1(VALU_DEP_2)
	v_fma_f32 v98, v96, v94, -v79
	v_fmac_f32_e32 v99, v97, v94
	v_add_nc_u32_e32 v79, 0x400, v83
	ds_store_b64 v83, v[98:99]
	ds_load_2addr_b64 v[94:97], v79 offset0:4 offset1:136
	v_add_nc_u32_e32 v144, 0x2c00, v83
	ds_load_2addr_b64 v[98:101], v82 offset0:12 offset1:144
	ds_load_2addr_b64 v[102:105], v143 offset0:20 offset1:152
	;; [unrolled: 1-line block ×3, first 2 shown]
	s_wait_loadcnt_dscnt 0x802
	v_dual_mul_f32 v148, v101, v125 :: v_dual_mul_f32 v145, v95, v119
	s_wait_loadcnt_dscnt 0x400
	v_mul_f32_e32 v152, v109, v133
	v_dual_mul_f32 v142, v94, v119 :: v_dual_mul_f32 v119, v96, v121
	ds_load_2addr_b64 v[110:113], v81 offset0:36 offset1:168
	ds_load_2addr_b64 v[114:117], v144 offset0:44 offset1:176
	v_dual_mul_f32 v146, v97, v121 :: v_dual_mul_f32 v147, v99, v123
	v_mul_f32_e32 v121, v98, v123
	v_mul_f32_e32 v123, v100, v125
	v_mul_f32_e32 v149, v103, v127
	v_dual_mul_f32 v125, v102, v127 :: v_dual_mul_f32 v150, v105, v129
	v_mul_f32_e32 v127, v104, v129
	v_mul_f32_e32 v151, v107, v131
	;; [unrolled: 1-line block ×3, first 2 shown]
	v_dual_mul_f32 v131, v108, v133 :: v_dual_fmac_f32 v142, v95, v118
	v_fmac_f32_e32 v119, v97, v120
	v_fmac_f32_e32 v123, v101, v124
	;; [unrolled: 1-line block ×6, first 2 shown]
	s_wait_loadcnt_dscnt 0x0
	v_dual_mul_f32 v153, v111, v135 :: v_dual_mul_f32 v156, v117, v141
	v_dual_mul_f32 v133, v110, v135 :: v_dual_mul_f32 v154, v113, v137
	v_mul_f32_e32 v135, v112, v137
	v_mul_f32_e32 v155, v115, v139
	;; [unrolled: 1-line block ×4, first 2 shown]
	v_fma_f32 v141, v94, v118, -v145
	v_fma_f32 v118, v96, v120, -v146
	;; [unrolled: 1-line block ×3, first 2 shown]
	v_fmac_f32_e32 v121, v99, v122
	v_fma_f32 v122, v100, v124, -v148
	v_fma_f32 v124, v102, v126, -v149
	;; [unrolled: 1-line block ×6, first 2 shown]
	v_fmac_f32_e32 v133, v111, v134
	v_fma_f32 v134, v112, v136, -v154
	v_fmac_f32_e32 v135, v113, v136
	v_fma_f32 v136, v114, v138, -v155
	;; [unrolled: 2-line block ×3, first 2 shown]
	v_fmac_f32_e32 v139, v117, v140
	ds_store_2addr_b64 v79, v[141:142], v[118:119] offset0:4 offset1:136
	ds_store_2addr_b64 v82, v[120:121], v[122:123] offset0:12 offset1:144
	;; [unrolled: 1-line block ×6, first 2 shown]
.LBB0_17:
	s_wait_alu 0xfffe
	s_or_b32 exec_lo, exec_lo, s10
	global_wb scope:SCOPE_SE
	s_wait_dscnt 0x0
	s_barrier_signal -1
	s_barrier_wait -1
	global_inv scope:SCOPE_SE
	s_and_saveexec_b32 s2, vcc_lo
	s_cbranch_execz .LBB0_19
; %bb.18:
	v_add_nc_u32_e32 v36, 0x800, v83
	v_add_nc_u32_e32 v37, 0x1000, v83
	;; [unrolled: 1-line block ×5, first 2 shown]
	ds_load_2addr_b64 v[40:43], v83 offset1:132
	ds_load_2addr_b64 v[56:59], v36 offset0:8 offset1:140
	ds_load_2addr_b64 v[52:55], v37 offset0:16 offset1:148
	;; [unrolled: 1-line block ×5, first 2 shown]
	ds_load_b64 v[61:62], v83 offset:12672
.LBB0_19:
	s_wait_alu 0xfffe
	s_or_b32 exec_lo, exec_lo, s2
	s_wait_dscnt 0x0
	v_dual_sub_f32 v106, v43, v62 :: v_dual_add_f32 v95, v38, v56
	v_add_f32_e32 v110, v62, v43
	v_add_f32_e32 v94, v61, v42
	v_dual_add_f32 v112, v39, v57 :: v_dual_sub_f32 v107, v57, v39
	s_delay_alu instid0(VALU_DEP_4) | instskip(NEXT) | instid1(VALU_DEP_4)
	v_dual_mul_f32 v113, 0xbf52af12, v106 :: v_dual_sub_f32 v96, v42, v61
	v_mul_f32_e32 v119, 0x3f116cb1, v110
	s_delay_alu instid0(VALU_DEP_3) | instskip(NEXT) | instid1(VALU_DEP_3)
	v_dual_sub_f32 v97, v56, v38 :: v_dual_mul_f32 v118, 0xbf6f5d39, v107
	v_fma_f32 v79, 0x3f116cb1, v94, -v113
	v_dual_mul_f32 v129, 0x3df6dbef, v110 :: v_dual_sub_f32 v108, v59, v37
	v_dual_mul_f32 v134, 0xbf788fa5, v112 :: v_dual_sub_f32 v109, v53, v47
	s_delay_alu instid0(VALU_DEP_3) | instskip(SKIP_4) | instid1(VALU_DEP_4)
	v_add_f32_e32 v79, v40, v79
	v_fma_f32 v98, 0xbeb58ec6, v95, -v118
	v_fmamk_f32 v80, v96, 0xbf52af12, v119
	v_dual_fmamk_f32 v82, v96, 0xbf7e222b, v129 :: v_dual_sub_f32 v99, v58, v36
	v_mul_f32_e32 v121, 0xbe750f2a, v108
	v_add_f32_e32 v79, v98, v79
	s_delay_alu instid0(VALU_DEP_4) | instskip(NEXT) | instid1(VALU_DEP_4)
	v_dual_mul_f32 v125, 0xbf7e222b, v106 :: v_dual_add_f32 v80, v41, v80
	v_add_f32_e32 v82, v41, v82
	v_dual_add_f32 v116, v37, v59 :: v_dual_mul_f32 v123, 0x3f29c268, v109
	s_delay_alu instid0(VALU_DEP_3) | instskip(SKIP_1) | instid1(VALU_DEP_3)
	v_fma_f32 v81, 0x3df6dbef, v94, -v125
	v_mul_f32_e32 v122, 0xbeb58ec6, v112
	v_dual_add_f32 v98, v36, v58 :: v_dual_mul_f32 v137, 0xbeb58ec6, v116
	v_dual_mul_f32 v130, 0x3f6f5d39, v108 :: v_dual_sub_f32 v111, v55, v45
	s_delay_alu instid0(VALU_DEP_4) | instskip(NEXT) | instid1(VALU_DEP_3)
	v_dual_add_f32 v81, v40, v81 :: v_dual_mul_f32 v128, 0xbe750f2a, v107
	v_fma_f32 v103, 0xbf788fa5, v98, -v121
	v_fmamk_f32 v100, v97, 0xbf6f5d39, v122
	v_fmamk_f32 v102, v97, 0xbe750f2a, v134
	v_dual_add_f32 v114, v47, v53 :: v_dual_mul_f32 v127, 0x3f7e222b, v111
	v_fma_f32 v101, 0xbf788fa5, v95, -v128
	s_delay_alu instid0(VALU_DEP_4) | instskip(NEXT) | instid1(VALU_DEP_3)
	v_dual_add_f32 v79, v103, v79 :: v_dual_add_f32 v80, v100, v80
	v_dual_add_f32 v100, v46, v52 :: v_dual_mul_f32 v139, 0x3f62ad3f, v114
	s_delay_alu instid0(VALU_DEP_3)
	v_add_f32_e32 v81, v101, v81
	v_fma_f32 v103, 0xbeb58ec6, v98, -v130
	v_dual_mul_f32 v124, 0xbf788fa5, v116 :: v_dual_sub_f32 v101, v52, v46
	v_dual_add_f32 v82, v102, v82 :: v_dual_mul_f32 v133, 0x3eedf032, v109
	v_mul_f32_e32 v126, 0xbf3f9e67, v114
	v_fma_f32 v105, 0xbf3f9e67, v100, -v123
	v_add_f32_e32 v81, v103, v81
	v_dual_sub_f32 v103, v54, v44 :: v_dual_fmamk_f32 v102, v99, 0xbe750f2a, v124
	v_add_f32_e32 v117, v45, v55
	s_delay_alu instid0(VALU_DEP_4) | instskip(NEXT) | instid1(VALU_DEP_3)
	v_dual_add_f32 v79, v105, v79 :: v_dual_fmamk_f32 v104, v99, 0x3f6f5d39, v137
	v_dual_fmamk_f32 v105, v101, 0x3eedf032, v139 :: v_dual_add_f32 v80, v102, v80
	s_delay_alu instid0(VALU_DEP_3)
	v_mul_f32_e32 v131, 0x3df6dbef, v117
	v_fmamk_f32 v102, v101, 0x3f29c268, v126
	v_mul_f32_e32 v140, 0x3f116cb1, v117
	v_mul_f32_e32 v135, 0xbf52af12, v111
	global_wb scope:SCOPE_SE
	s_barrier_signal -1
	v_add_f32_e32 v80, v102, v80
	v_add_f32_e32 v102, v44, v54
	s_barrier_wait -1
	global_inv scope:SCOPE_SE
	v_fma_f32 v115, 0x3df6dbef, v102, -v127
	s_delay_alu instid0(VALU_DEP_1) | instskip(SKIP_3) | instid1(VALU_DEP_3)
	v_add_f32_e32 v79, v115, v79
	v_dual_sub_f32 v115, v49, v51 :: v_dual_add_f32 v82, v104, v82
	v_fma_f32 v104, 0x3f62ad3f, v100, -v133
	v_fma_f32 v120, 0x3f116cb1, v102, -v135
	v_mul_f32_e32 v132, 0x3eedf032, v115
	s_delay_alu instid0(VALU_DEP_3) | instskip(SKIP_2) | instid1(VALU_DEP_3)
	v_dual_add_f32 v82, v105, v82 :: v_dual_add_f32 v81, v104, v81
	v_dual_fmamk_f32 v104, v103, 0x3f7e222b, v131 :: v_dual_sub_f32 v105, v48, v50
	v_mul_f32_e32 v138, 0xbf29c268, v115
	v_add_f32_e32 v142, v120, v81
	v_add_f32_e32 v120, v51, v49
	v_fmamk_f32 v81, v103, 0xbf52af12, v140
	s_delay_alu instid0(VALU_DEP_2) | instskip(SKIP_1) | instid1(VALU_DEP_3)
	v_mul_f32_e32 v141, 0xbf3f9e67, v120
	v_add_f32_e32 v80, v104, v80
	v_dual_add_f32 v104, v50, v48 :: v_dual_add_f32 v143, v81, v82
	s_delay_alu instid0(VALU_DEP_3) | instskip(NEXT) | instid1(VALU_DEP_2)
	v_fmamk_f32 v145, v105, 0xbf29c268, v141
	v_fma_f32 v81, 0x3f62ad3f, v104, -v132
	v_fma_f32 v144, 0xbf3f9e67, v104, -v138
	s_delay_alu instid0(VALU_DEP_2) | instskip(NEXT) | instid1(VALU_DEP_2)
	v_add_f32_e32 v81, v81, v79
	v_dual_add_f32 v79, v144, v142 :: v_dual_mul_f32 v136, 0x3f62ad3f, v120
	s_delay_alu instid0(VALU_DEP_1) | instskip(NEXT) | instid1(VALU_DEP_1)
	v_fmamk_f32 v82, v105, 0x3eedf032, v136
	v_add_f32_e32 v82, v82, v80
	v_add_f32_e32 v80, v145, v143
	s_and_saveexec_b32 s2, vcc_lo
	s_cbranch_execz .LBB0_21
; %bb.20:
	v_dual_mul_f32 v144, 0xbf29c268, v96 :: v_dual_mul_f32 v175, 0xbf29c268, v105
	v_dual_mul_f32 v145, 0x3f7e222b, v97 :: v_dual_mul_f32 v174, 0x3f7e222b, v107
	v_mul_f32_e32 v150, 0x3df6dbef, v94
	s_delay_alu instid0(VALU_DEP_3) | instskip(SKIP_2) | instid1(VALU_DEP_3)
	v_dual_fmamk_f32 v142, v110, 0xbf3f9e67, v144 :: v_dual_mul_f32 v185, 0xbf3f9e67, v116
	v_fma_f32 v144, 0xbf3f9e67, v110, -v144
	v_mul_f32_e32 v149, 0xbf52af12, v96
	v_dual_fmamk_f32 v143, v112, 0x3df6dbef, v145 :: v_dual_add_f32 v142, v41, v142
	v_dual_mul_f32 v146, 0xbf52af12, v99 :: v_dual_mul_f32 v177, 0xbf52af12, v108
	v_dual_mul_f32 v178, 0xbf6f5d39, v105 :: v_dual_mul_f32 v195, 0xbf6f5d39, v111
	v_dual_mul_f32 v179, 0xbf788fa5, v110 :: v_dual_add_f32 v144, v41, v144
	v_fma_f32 v194, 0x3df6dbef, v112, -v145
	v_mul_f32_e32 v148, 0x3f116cb1, v94
	v_dual_mul_f32 v151, 0xbf7e222b, v96 :: v_dual_add_f32 v142, v143, v142
	v_fmamk_f32 v143, v116, 0x3f116cb1, v146
	v_dual_fmamk_f32 v180, v120, 0xbeb58ec6, v178 :: v_dual_mul_f32 v187, 0xbeb58ec6, v117
	v_dual_mul_f32 v183, 0x3eedf032, v111 :: v_dual_add_f32 v144, v194, v144
	v_fma_f32 v146, 0x3f116cb1, v116, -v146
	v_mul_f32_e32 v170, 0xbf29c268, v106
	s_delay_alu instid0(VALU_DEP_4) | instskip(SKIP_1) | instid1(VALU_DEP_4)
	v_fmamk_f32 v191, v103, 0x3f6f5d39, v187
	v_dual_mul_f32 v153, 0xbf6f5d39, v97 :: v_dual_add_f32 v142, v143, v142
	v_dual_add_f32 v144, v146, v144 :: v_dual_mul_f32 v147, 0x3e750f2a, v101
	v_mul_f32_e32 v154, 0xbf788fa5, v95
	v_mul_f32_e32 v171, 0x3eedf032, v103
	v_fma_f32 v173, 0xbf3f9e67, v94, -v170
	v_mul_f32_e32 v152, 0xbeb58ec6, v95
	v_fmamk_f32 v143, v114, 0xbf788fa5, v147
	v_mul_f32_e32 v155, 0xbe750f2a, v97
	s_delay_alu instid0(VALU_DEP_4) | instskip(SKIP_1) | instid1(VALU_DEP_4)
	v_dual_mul_f32 v162, 0x3f62ad3f, v100 :: v_dual_add_f32 v173, v40, v173
	v_fma_f32 v176, 0x3df6dbef, v95, -v174
	v_dual_add_f32 v142, v143, v142 :: v_dual_fmamk_f32 v143, v117, 0x3f62ad3f, v171
	v_mul_f32_e32 v156, 0xbf788fa5, v98
	v_mul_f32_e32 v157, 0xbe750f2a, v99
	v_fmamk_f32 v181, v96, 0x3e750f2a, v179
	v_mul_f32_e32 v182, 0x3f62ad3f, v112
	v_dual_add_f32 v142, v143, v142 :: v_dual_add_f32 v143, v176, v173
	v_fma_f32 v173, 0x3f116cb1, v98, -v177
	v_mul_f32_e32 v176, 0x3e750f2a, v109
	v_mul_f32_e32 v158, 0xbeb58ec6, v98
	v_dual_mul_f32 v160, 0xbf3f9e67, v100 :: v_dual_add_f32 v181, v41, v181
	s_delay_alu instid0(VALU_DEP_4) | instskip(NEXT) | instid1(VALU_DEP_4)
	v_add_f32_e32 v143, v173, v143
	v_fma_f32 v173, 0xbf788fa5, v100, -v176
	v_fmamk_f32 v184, v97, 0xbeedf032, v182
	v_mul_f32_e32 v159, 0x3f6f5d39, v99
	v_mul_f32_e32 v161, 0x3f29c268, v101
	s_delay_alu instid0(VALU_DEP_4)
	v_dual_mul_f32 v164, 0x3df6dbef, v102 :: v_dual_add_f32 v173, v173, v143
	v_dual_mul_f32 v168, 0x3f62ad3f, v104 :: v_dual_add_f32 v143, v180, v142
	v_add_f32_e32 v142, v184, v181
	v_fmamk_f32 v180, v99, 0x3f29c268, v185
	v_mul_f32_e32 v192, 0x3f52af12, v109
	v_mul_f32_e32 v181, 0x3f116cb1, v114
	;; [unrolled: 1-line block ×3, first 2 shown]
	s_delay_alu instid0(VALU_DEP_4) | instskip(SKIP_1) | instid1(VALU_DEP_4)
	v_dual_mul_f32 v167, 0xbf52af12, v103 :: v_dual_add_f32 v142, v180, v142
	v_fma_f32 v186, 0x3f62ad3f, v102, -v183
	v_fmamk_f32 v180, v101, 0xbf52af12, v181
	v_mul_f32_e32 v165, 0x3f7e222b, v103
	v_fmac_f32_e32 v174, 0x3df6dbef, v95
	s_delay_alu instid0(VALU_DEP_4) | instskip(NEXT) | instid1(VALU_DEP_4)
	v_dual_mul_f32 v166, 0x3f116cb1, v102 :: v_dual_add_f32 v173, v186, v173
	v_dual_add_f32 v180, v180, v142 :: v_dual_mul_f32 v169, 0x3eedf032, v105
	v_mul_f32_e32 v190, 0x3eedf032, v107
	v_dual_sub_f32 v129, v129, v151 :: v_dual_fmac_f32 v176, 0xbf788fa5, v100
	s_delay_alu instid0(VALU_DEP_3) | instskip(SKIP_4) | instid1(VALU_DEP_3)
	v_add_f32_e32 v180, v191, v180
	v_mul_f32_e32 v191, 0x3df6dbef, v120
	v_fma_f32 v146, 0xbf788fa5, v114, -v147
	v_dual_mul_f32 v194, 0x3eedf032, v108 :: v_dual_add_f32 v113, v148, v113
	v_add_f32_e32 v121, v156, v121
	v_dual_fmamk_f32 v193, v105, 0xbf7e222b, v191 :: v_dual_add_f32 v146, v146, v144
	v_dual_mul_f32 v184, 0xbf6f5d39, v115 :: v_dual_add_f32 v43, v43, v41
	v_fmac_f32_e32 v191, 0x3f7e222b, v105
	s_delay_alu instid0(VALU_DEP_3) | instskip(SKIP_1) | instid1(VALU_DEP_4)
	v_add_f32_e32 v145, v193, v180
	v_fmac_f32_e32 v183, 0x3f62ad3f, v102
	v_fma_f32 v188, 0xbeb58ec6, v104, -v184
	v_dual_fmac_f32 v184, 0xbeb58ec6, v104 :: v_dual_add_f32 v197, v41, v129
	v_mul_f32_e32 v193, 0x3f29c268, v107
	s_delay_alu instid0(VALU_DEP_3)
	v_dual_sub_f32 v137, v137, v159 :: v_dual_add_f32 v142, v188, v173
	v_fma_f32 v171, 0x3f62ad3f, v117, -v171
	v_fmamk_f32 v188, v95, 0x3f62ad3f, v190
	v_add_f32_e32 v42, v42, v40
	v_add_f32_e32 v125, v150, v125
	;; [unrolled: 1-line block ×4, first 2 shown]
	v_fmamk_f32 v180, v102, 0xbeb58ec6, v195
	v_mul_f32_e32 v186, 0xbe750f2a, v106
	v_sub_f32_e32 v122, v122, v153
	v_sub_f32_e32 v119, v119, v149
	;; [unrolled: 1-line block ×3, first 2 shown]
	s_delay_alu instid0(VALU_DEP_4) | instskip(SKIP_1) | instid1(VALU_DEP_2)
	v_dual_add_f32 v118, v152, v118 :: v_dual_fmamk_f32 v189, v94, 0xbf788fa5, v186
	v_add_f32_e32 v42, v56, v42
	v_dual_mul_f32 v56, 0xbeedf032, v106 :: v_dual_add_f32 v173, v40, v189
	v_fmac_f32_e32 v170, 0xbf3f9e67, v94
	v_mul_f32_e32 v172, 0xbf3f9e67, v104
	s_delay_alu instid0(VALU_DEP_4) | instskip(NEXT) | instid1(VALU_DEP_4)
	v_add_f32_e32 v42, v58, v42
	v_dual_mul_f32 v58, 0xbf52af12, v107 :: v_dual_add_f32 v173, v188, v173
	s_delay_alu instid0(VALU_DEP_4) | instskip(NEXT) | instid1(VALU_DEP_3)
	v_dual_add_f32 v170, v40, v170 :: v_dual_mul_f32 v189, 0xbf29c268, v108
	v_add_f32_e32 v42, v52, v42
	s_delay_alu instid0(VALU_DEP_2) | instskip(NEXT) | instid1(VALU_DEP_3)
	v_add_f32_e32 v170, v174, v170
	v_fmamk_f32 v188, v98, 0xbf3f9e67, v189
	v_mul_f32_e32 v174, 0x3f62ad3f, v116
	v_mul_f32_e32 v116, 0x3df6dbef, v116
	s_delay_alu instid0(VALU_DEP_3) | instskip(SKIP_2) | instid1(VALU_DEP_3)
	v_dual_add_f32 v42, v54, v42 :: v_dual_add_f32 v173, v188, v173
	v_fmamk_f32 v188, v100, 0x3f116cb1, v192
	v_fmac_f32_e32 v182, 0x3eedf032, v97
	v_dual_fmac_f32 v181, 0x3f52af12, v101 :: v_dual_add_f32 v42, v48, v42
	v_mul_f32_e32 v48, 0xbf6f5d39, v109
	s_delay_alu instid0(VALU_DEP_4) | instskip(NEXT) | instid1(VALU_DEP_3)
	v_dual_add_f32 v173, v188, v173 :: v_dual_mul_f32 v188, 0x3f7e222b, v115
	v_add_f32_e32 v42, v50, v42
	s_delay_alu instid0(VALU_DEP_3) | instskip(NEXT) | instid1(VALU_DEP_3)
	v_fmamk_f32 v50, v100, 0xbeb58ec6, v48
	v_add_f32_e32 v147, v180, v173
	v_fmac_f32_e32 v177, 0x3f116cb1, v98
	v_fmamk_f32 v173, v104, 0x3df6dbef, v188
	v_mul_f32_e32 v180, 0xbeb58ec6, v110
	v_mul_f32_e32 v110, 0x3f62ad3f, v110
	v_add_f32_e32 v42, v44, v42
	v_add_f32_e32 v170, v177, v170
	v_dual_add_f32 v144, v173, v147 :: v_dual_mul_f32 v173, 0xbf3f9e67, v112
	v_fma_f32 v177, 0xbeb58ec6, v120, -v178
	s_delay_alu instid0(VALU_DEP_4) | instskip(NEXT) | instid1(VALU_DEP_4)
	v_add_f32_e32 v42, v46, v42
	v_add_f32_e32 v170, v176, v170
	v_fmamk_f32 v147, v96, 0x3f6f5d39, v180
	v_fmamk_f32 v171, v97, 0xbf29c268, v173
	v_fma_f32 v46, 0xbeb58ec6, v102, -v195
	v_fmac_f32_e32 v185, 0xbf29c268, v99
	v_fmac_f32_e32 v179, 0xbe750f2a, v96
	v_dual_add_f32 v147, v41, v147 :: v_dual_add_f32 v36, v36, v42
	s_delay_alu instid0(VALU_DEP_1)
	v_add_f32_e32 v171, v171, v147
	v_add_f32_e32 v147, v177, v146
	;; [unrolled: 1-line block ×3, first 2 shown]
	v_mul_f32_e32 v170, 0xbf6f5d39, v106
	v_mul_f32_e32 v177, 0xbf788fa5, v117
	v_dual_mul_f32 v117, 0xbf3f9e67, v117 :: v_dual_add_f32 v36, v38, v36
	s_delay_alu instid0(VALU_DEP_3)
	v_dual_add_f32 v146, v184, v146 :: v_dual_fmamk_f32 v183, v94, 0xbeb58ec6, v170
	v_fmamk_f32 v176, v99, 0xbeedf032, v174
	v_fmamk_f32 v184, v95, 0xbf3f9e67, v193
	v_fmac_f32_e32 v180, 0xbf6f5d39, v96
	v_fmac_f32_e32 v174, 0x3eedf032, v99
	v_add_f32_e32 v183, v40, v183
	v_dual_add_f32 v171, v176, v171 :: v_dual_mul_f32 v178, 0x3df6dbef, v114
	v_dual_mul_f32 v114, 0xbeb58ec6, v114 :: v_dual_add_f32 v43, v57, v43
	s_delay_alu instid0(VALU_DEP_3) | instskip(SKIP_1) | instid1(VALU_DEP_4)
	v_add_f32_e32 v151, v184, v183
	v_fmamk_f32 v183, v98, 0x3f62ad3f, v194
	v_fmamk_f32 v176, v101, 0x3f7e222b, v178
	v_mul_f32_e32 v184, 0xbf7e222b, v109
	v_sub_f32_e32 v134, v134, v155
	v_add_f32_e32 v43, v59, v43
	v_add_f32_e32 v151, v183, v151
	v_dual_add_f32 v171, v176, v171 :: v_dual_fmamk_f32 v176, v103, 0xbe750f2a, v177
	s_delay_alu instid0(VALU_DEP_4) | instskip(SKIP_2) | instid1(VALU_DEP_4)
	v_dual_mul_f32 v183, 0x3e750f2a, v111 :: v_dual_add_f32 v134, v134, v197
	v_mul_f32_e32 v159, 0x3f52af12, v115
	v_add_f32_e32 v43, v53, v43
	v_add_f32_e32 v171, v176, v171
	s_delay_alu instid0(VALU_DEP_4) | instskip(SKIP_4) | instid1(VALU_DEP_3)
	v_dual_fmamk_f32 v53, v94, 0x3f62ad3f, v56 :: v_dual_add_f32 v134, v137, v134
	v_sub_f32_e32 v137, v139, v163
	v_fmamk_f32 v155, v100, 0x3df6dbef, v184
	v_mul_f32_e32 v176, 0x3f116cb1, v120
	v_dual_fmamk_f32 v150, v104, 0x3f116cb1, v159 :: v_dual_add_f32 v43, v55, v43
	v_dual_add_f32 v134, v137, v134 :: v_dual_add_f32 v151, v155, v151
	s_delay_alu instid0(VALU_DEP_3) | instskip(SKIP_4) | instid1(VALU_DEP_4)
	v_fmamk_f32 v196, v105, 0xbf52af12, v176
	v_fmamk_f32 v155, v102, 0xbf788fa5, v183
	v_sub_f32_e32 v137, v140, v167
	v_dual_fmamk_f32 v59, v103, 0x3f29c268, v117 :: v_dual_add_f32 v52, v40, v53
	v_fmamk_f32 v53, v95, 0x3f116cb1, v58
	v_add_f32_e32 v139, v155, v151
	v_add_f32_e32 v125, v40, v125
	v_dual_add_f32 v151, v154, v128 :: v_dual_add_f32 v134, v137, v134
	v_sub_f32_e32 v137, v141, v175
	s_delay_alu instid0(VALU_DEP_4) | instskip(SKIP_1) | instid1(VALU_DEP_4)
	v_add_f32_e32 v128, v150, v139
	v_add_f32_e32 v139, v41, v119
	;; [unrolled: 1-line block ×3, first 2 shown]
	v_mul_f32_e32 v55, 0xbf7e222b, v108
	v_add_f32_e32 v119, v137, v134
	v_add_f32_e32 v43, v49, v43
	s_delay_alu instid0(VALU_DEP_4)
	v_dual_add_f32 v52, v53, v52 :: v_dual_add_f32 v125, v130, v125
	v_add_f32_e32 v130, v162, v133
	v_add_f32_e32 v122, v122, v139
	v_fmamk_f32 v53, v98, 0x3df6dbef, v55
	v_add_f32_e32 v43, v51, v43
	v_mul_f32_e32 v49, 0xbf788fa5, v120
	s_delay_alu instid0(VALU_DEP_4) | instskip(SKIP_4) | instid1(VALU_DEP_4)
	v_dual_add_f32 v125, v130, v125 :: v_dual_add_f32 v122, v124, v122
	v_sub_f32_e32 v124, v126, v161
	v_add_f32_e32 v130, v166, v135
	v_add_f32_e32 v126, v172, v138
	;; [unrolled: 1-line block ×3, first 2 shown]
	v_dual_add_f32 v45, v45, v43 :: v_dual_add_f32 v122, v124, v122
	v_sub_f32_e32 v124, v131, v165
	v_add_f32_e32 v125, v130, v125
	v_fmac_f32_e32 v177, 0x3e750f2a, v103
	s_delay_alu instid0(VALU_DEP_4) | instskip(NEXT) | instid1(VALU_DEP_4)
	v_add_f32_e32 v45, v47, v45
	v_dual_fmac_f32 v187, 0xbf6f5d39, v103 :: v_dual_add_f32 v122, v124, v122
	v_fmamk_f32 v124, v96, 0x3eedf032, v110
	v_add_f32_e32 v113, v40, v113
	s_delay_alu instid0(VALU_DEP_4) | instskip(SKIP_1) | instid1(VALU_DEP_3)
	v_add_f32_e32 v37, v37, v45
	v_dual_fmamk_f32 v51, v105, 0x3e750f2a, v49 :: v_dual_add_f32 v44, v50, v52
	v_dual_mul_f32 v50, 0xbe750f2a, v115 :: v_dual_add_f32 v113, v118, v113
	v_dual_add_f32 v118, v126, v125 :: v_dual_mul_f32 v125, 0x3f116cb1, v112
	s_delay_alu instid0(VALU_DEP_4) | instskip(SKIP_1) | instid1(VALU_DEP_4)
	v_add_f32_e32 v37, v39, v37
	v_add_f32_e32 v39, v41, v179
	;; [unrolled: 1-line block ×4, first 2 shown]
	v_fmac_f32_e32 v49, 0xbe750f2a, v105
	v_add_f32_e32 v37, v62, v37
	v_add_f32_e32 v38, v182, v39
	s_delay_alu instid0(VALU_DEP_4) | instskip(SKIP_1) | instid1(VALU_DEP_3)
	v_dual_add_f32 v129, v196, v171 :: v_dual_add_f32 v112, v121, v113
	v_add_f32_e32 v121, v164, v127
	v_dual_sub_f32 v123, v136, v169 :: v_dual_add_f32 v38, v185, v38
	v_fmamk_f32 v45, v104, 0xbf788fa5, v50
	v_fma_f32 v50, 0xbf788fa5, v104, -v50
	s_delay_alu instid0(VALU_DEP_3) | instskip(NEXT) | instid1(VALU_DEP_4)
	v_dual_add_f32 v112, v121, v112 :: v_dual_add_f32 v113, v123, v122
	v_add_f32_e32 v38, v181, v38
	v_add_f32_e32 v122, v41, v124
	v_fmamk_f32 v123, v97, 0x3f52af12, v125
	v_add_f32_e32 v121, v168, v132
	v_dual_mul_f32 v53, 0xbf29c268, v111 :: v_dual_add_f32 v36, v61, v36
	v_add_f32_e32 v38, v187, v38
	s_delay_alu instid0(VALU_DEP_4) | instskip(NEXT) | instid1(VALU_DEP_4)
	v_add_f32_e32 v122, v123, v122
	v_dual_fmamk_f32 v123, v99, 0x3f7e222b, v116 :: v_dual_add_f32 v112, v121, v112
	v_fmamk_f32 v121, v101, 0x3f6f5d39, v114
	v_fmamk_f32 v47, v102, 0xbf3f9e67, v53
	s_delay_alu instid0(VALU_DEP_3) | instskip(SKIP_2) | instid1(VALU_DEP_4)
	v_dual_fmac_f32 v178, 0xbf7e222b, v101 :: v_dual_add_f32 v57, v123, v122
	v_fmac_f32_e32 v110, 0xbeedf032, v96
	v_fmac_f32_e32 v114, 0xbf6f5d39, v101
	v_add_f32_e32 v44, v47, v44
	v_fmac_f32_e32 v176, 0x3f52af12, v105
	v_dual_add_f32 v57, v121, v57 :: v_dual_fmac_f32 v116, 0xbf7e222b, v99
	s_delay_alu instid0(VALU_DEP_3) | instskip(SKIP_1) | instid1(VALU_DEP_3)
	v_add_f32_e32 v42, v45, v44
	v_fma_f32 v44, 0xbf788fa5, v94, -v186
	v_add_f32_e32 v57, v59, v57
	s_delay_alu instid0(VALU_DEP_2) | instskip(NEXT) | instid1(VALU_DEP_2)
	v_add_f32_e32 v39, v40, v44
	v_add_f32_e32 v43, v51, v57
	v_fma_f32 v44, 0x3f62ad3f, v95, -v190
	v_fma_f32 v51, 0xbf3f9e67, v95, -v193
	s_delay_alu instid0(VALU_DEP_2) | instskip(SKIP_1) | instid1(VALU_DEP_1)
	v_add_f32_e32 v39, v44, v39
	v_fma_f32 v44, 0xbf3f9e67, v98, -v189
	v_add_f32_e32 v39, v44, v39
	v_fma_f32 v44, 0x3f116cb1, v100, -v192
	s_delay_alu instid0(VALU_DEP_1) | instskip(SKIP_1) | instid1(VALU_DEP_2)
	v_dual_add_f32 v44, v44, v39 :: v_dual_add_f32 v39, v191, v38
	v_fma_f32 v38, 0xbeb58ec6, v94, -v170
	v_add_f32_e32 v44, v46, v44
	v_fma_f32 v46, 0x3df6dbef, v104, -v188
	v_fmac_f32_e32 v173, 0x3f29c268, v97
	s_delay_alu instid0(VALU_DEP_4) | instskip(SKIP_1) | instid1(VALU_DEP_4)
	v_add_f32_e32 v47, v40, v38
	v_add_f32_e32 v45, v41, v180
	v_dual_add_f32 v41, v41, v110 :: v_dual_add_f32 v38, v46, v44
	s_delay_alu instid0(VALU_DEP_3) | instskip(SKIP_1) | instid1(VALU_DEP_1)
	v_add_f32_e32 v46, v51, v47
	v_fma_f32 v47, 0x3f62ad3f, v98, -v194
	v_dual_add_f32 v45, v173, v45 :: v_dual_add_f32 v46, v47, v46
	s_delay_alu instid0(VALU_DEP_1) | instskip(SKIP_1) | instid1(VALU_DEP_1)
	v_add_f32_e32 v45, v174, v45
	v_fma_f32 v47, 0x3df6dbef, v100, -v184
	v_dual_add_f32 v45, v178, v45 :: v_dual_add_f32 v46, v47, v46
	v_fma_f32 v47, 0xbf788fa5, v102, -v183
	v_fmac_f32_e32 v125, 0xbf52af12, v97
	s_delay_alu instid0(VALU_DEP_3) | instskip(SKIP_1) | instid1(VALU_DEP_4)
	v_add_f32_e32 v44, v177, v45
	v_fma_f32 v45, 0x3f62ad3f, v94, -v56
	v_add_f32_e32 v46, v47, v46
	v_fma_f32 v47, 0x3f116cb1, v104, -v159
	s_delay_alu instid0(VALU_DEP_3) | instskip(SKIP_1) | instid1(VALU_DEP_1)
	v_dual_fmac_f32 v117, 0xbf29c268, v103 :: v_dual_add_f32 v40, v40, v45
	v_fma_f32 v45, 0x3f116cb1, v95, -v58
	v_add_f32_e32 v40, v45, v40
	v_fma_f32 v45, 0x3df6dbef, v98, -v55
	s_delay_alu instid0(VALU_DEP_1) | instskip(SKIP_3) | instid1(VALU_DEP_3)
	v_add_f32_e32 v40, v45, v40
	v_fma_f32 v45, 0xbeb58ec6, v100, -v48
	v_and_b32_e32 v48, 0xffff, v85
	v_add_f32_e32 v41, v125, v41
	v_add_f32_e32 v40, v45, v40
	s_delay_alu instid0(VALU_DEP_2) | instskip(SKIP_1) | instid1(VALU_DEP_1)
	v_dual_add_f32 v41, v116, v41 :: v_dual_lshlrev_b32 v48, 3, v48
	v_fma_f32 v45, 0xbf3f9e67, v102, -v53
	v_dual_add_f32 v41, v114, v41 :: v_dual_add_f32 v52, v45, v40
	s_delay_alu instid0(VALU_DEP_1) | instskip(SKIP_1) | instid1(VALU_DEP_2)
	v_dual_add_f32 v40, v47, v46 :: v_dual_add_f32 v51, v117, v41
	v_add_f32_e32 v41, v176, v44
	v_dual_add_f32 v44, v50, v52 :: v_dual_add_f32 v45, v49, v51
	ds_store_2addr_b64 v48, v[36:37], v[42:43] offset1:1
	ds_store_2addr_b64 v48, v[112:113], v[118:119] offset0:2 offset1:3
	ds_store_2addr_b64 v48, v[128:129], v[146:147] offset0:4 offset1:5
	;; [unrolled: 1-line block ×5, first 2 shown]
	ds_store_b64 v48, v[44:45] offset:96
.LBB0_21:
	s_wait_alu 0xfffe
	s_or_b32 exec_lo, exec_lo, s2
	v_add_nc_u32_e32 v36, 0x1300, v83
	v_add_nc_u32_e32 v40, 0x1e00, v83
	;; [unrolled: 1-line block ×4, first 2 shown]
	global_wb scope:SCOPE_SE
	s_wait_dscnt 0x0
	s_barrier_signal -1
	s_barrier_wait -1
	global_inv scope:SCOPE_SE
	ds_load_2addr_b64 v[44:47], v83 offset1:156
	ds_load_2addr_b64 v[36:39], v36 offset0:16 offset1:250
	ds_load_2addr_b64 v[52:55], v40 offset0:54 offset1:210
	;; [unrolled: 1-line block ×4, first 2 shown]
	s_and_saveexec_b32 s2, s0
	s_cbranch_execz .LBB0_23
; %bb.22:
	ds_load_b64 v[79:80], v83 offset:6240
	ds_load_b64 v[81:82], v83 offset:13104
.LBB0_23:
	s_wait_alu 0xfffe
	s_or_b32 exec_lo, exec_lo, s2
	s_wait_dscnt 0x2
	v_dual_mul_f32 v56, v74, v39 :: v_dual_mul_f32 v59, v76, v52
	v_dual_mul_f32 v57, v74, v38 :: v_dual_mul_f32 v58, v76, v53
	s_wait_dscnt 0x0
	s_delay_alu instid0(VALU_DEP_2) | instskip(NEXT) | instid1(VALU_DEP_3)
	v_dual_mul_f32 v61, v68, v51 :: v_dual_fmac_f32 v56, v73, v38
	v_fma_f32 v53, v75, v53, -v59
	s_delay_alu instid0(VALU_DEP_3) | instskip(SKIP_3) | instid1(VALU_DEP_3)
	v_fma_f32 v38, v73, v39, -v57
	v_dual_mul_f32 v39, v70, v55 :: v_dual_fmac_f32 v58, v75, v52
	v_dual_mul_f32 v57, v72, v49 :: v_dual_mul_f32 v52, v70, v54
	v_mul_f32_e32 v59, v72, v48
	v_fmac_f32_e32 v39, v69, v54
	v_sub_f32_e32 v53, v47, v53
	global_wb scope:SCOPE_SE
	v_fma_f32 v55, v69, v55, -v52
	v_fma_f32 v62, v71, v49, -v59
	v_mul_f32_e32 v49, v68, v50
	v_dual_mul_f32 v68, v66, v82 :: v_dual_fmac_f32 v57, v71, v48
	v_dual_fmac_f32 v61, v67, v50 :: v_dual_sub_f32 v48, v44, v56
	v_mul_f32_e32 v50, v66, v81
	s_delay_alu instid0(VALU_DEP_3)
	v_fmac_f32_e32 v68, v65, v81
	v_sub_f32_e32 v52, v46, v58
	v_sub_f32_e32 v54, v40, v39
	;; [unrolled: 1-line block ×3, first 2 shown]
	v_fma_f32 v65, v65, v82, -v50
	v_fma_f32 v50, v44, 2.0, -v48
	v_sub_f32_e32 v44, v42, v57
	v_fma_f32 v66, v67, v51, -v49
	v_sub_f32_e32 v49, v45, v38
	v_fma_f32 v56, v46, 2.0, -v52
	v_fma_f32 v57, v47, 2.0, -v53
	;; [unrolled: 1-line block ×3, first 2 shown]
	v_sub_f32_e32 v40, v36, v61
	v_fma_f32 v51, v45, 2.0, -v49
	v_fma_f32 v59, v41, 2.0, -v55
	v_sub_f32_e32 v45, v43, v62
	v_dual_sub_f32 v41, v37, v66 :: v_dual_sub_f32 v46, v79, v68
	v_sub_f32_e32 v47, v80, v65
	v_fma_f32 v38, v42, 2.0, -v44
	s_delay_alu instid0(VALU_DEP_4)
	v_fma_f32 v39, v43, 2.0, -v45
	v_fma_f32 v36, v36, 2.0, -v40
	;; [unrolled: 1-line block ×5, first 2 shown]
	s_barrier_signal -1
	s_barrier_wait -1
	global_inv scope:SCOPE_SE
	ds_store_2addr_b64 v86, v[50:51], v[48:49] offset1:13
	ds_store_2addr_b64 v92, v[56:57], v[52:53] offset1:13
	;; [unrolled: 1-line block ×5, first 2 shown]
	s_and_saveexec_b32 s2, s0
	s_cbranch_execz .LBB0_25
; %bb.24:
	v_and_b32_e32 v48, 0xffff, v88
	s_delay_alu instid0(VALU_DEP_1)
	v_lshlrev_b32_e32 v48, 3, v48
	ds_store_2addr_b64 v48, v[42:43], v[46:47] offset1:13
.LBB0_25:
	s_wait_alu 0xfffe
	s_or_b32 exec_lo, exec_lo, s2
	global_wb scope:SCOPE_SE
	s_wait_dscnt 0x0
	s_barrier_signal -1
	s_barrier_wait -1
	global_inv scope:SCOPE_SE
	ds_load_b64 v[48:49], v83
	ds_load_b64 v[58:59], v83 offset:2288
	ds_load_b64 v[56:57], v83 offset:4576
	;; [unrolled: 1-line block ×5, first 2 shown]
	s_and_saveexec_b32 s0, s1
	s_cbranch_execz .LBB0_27
; %bb.26:
	ds_load_b64 v[38:39], v83 offset:1248
	ds_load_b64 v[44:45], v83 offset:3536
	;; [unrolled: 1-line block ×6, first 2 shown]
.LBB0_27:
	s_wait_alu 0xfffe
	s_or_b32 exec_lo, exec_lo, s0
	s_wait_dscnt 0x3
	v_dual_mul_f32 v61, v21, v59 :: v_dual_mul_f32 v62, v23, v57
	v_mul_f32_e32 v21, v21, v58
	global_wb scope:SCOPE_SE
	s_wait_dscnt 0x0
	s_barrier_signal -1
	v_dual_fmac_f32 v61, v20, v58 :: v_dual_fmac_f32 v62, v22, v56
	v_mul_f32_e32 v23, v23, v56
	v_mul_f32_e32 v56, v15, v53
	v_fma_f32 v20, v20, v59, -v21
	v_mul_f32_e32 v21, v13, v55
	s_barrier_wait -1
	v_fma_f32 v22, v22, v57, -v23
	v_dual_fmac_f32 v56, v14, v52 :: v_dual_mul_f32 v13, v13, v54
	v_mul_f32_e32 v15, v15, v52
	v_mul_f32_e32 v23, v78, v51
	v_fmac_f32_e32 v21, v12, v54
	global_inv scope:SCOPE_SE
	v_fma_f32 v12, v12, v55, -v13
	v_fma_f32 v14, v14, v53, -v15
	v_fmac_f32_e32 v23, v77, v50
	v_add_f32_e32 v15, v62, v56
	v_mul_f32_e32 v13, v78, v50
	v_add_f32_e32 v50, v48, v62
	s_delay_alu instid0(VALU_DEP_3) | instskip(SKIP_1) | instid1(VALU_DEP_3)
	v_fma_f32 v48, -0.5, v15, v48
	v_sub_f32_e32 v15, v22, v14
	v_add_f32_e32 v50, v50, v56
	s_delay_alu instid0(VALU_DEP_2) | instskip(SKIP_2) | instid1(VALU_DEP_1)
	v_fmamk_f32 v52, v15, 0xbf5db3d7, v48
	v_fmac_f32_e32 v48, 0x3f5db3d7, v15
	v_fma_f32 v13, v77, v51, -v13
	v_add_f32_e32 v15, v12, v13
	v_add_f32_e32 v51, v22, v14
	;; [unrolled: 1-line block ×3, first 2 shown]
	s_delay_alu instid0(VALU_DEP_1)
	v_dual_add_f32 v53, v22, v14 :: v_dual_add_f32 v22, v20, v12
	v_add_f32_e32 v14, v21, v23
	v_fmac_f32_e32 v20, -0.5, v15
	v_sub_f32_e32 v15, v21, v23
	v_fmac_f32_e32 v49, -0.5, v51
	v_sub_f32_e32 v51, v62, v56
	v_add_f32_e32 v21, v61, v21
	v_dual_fmac_f32 v61, -0.5, v14 :: v_dual_sub_f32 v12, v12, v13
	v_add_f32_e32 v56, v22, v13
	v_fmamk_f32 v14, v15, 0x3f5db3d7, v20
	v_fmac_f32_e32 v20, 0xbf5db3d7, v15
	v_fmamk_f32 v54, v51, 0x3f5db3d7, v49
	v_fmac_f32_e32 v49, 0xbf5db3d7, v51
	v_add_f32_e32 v23, v21, v23
	v_fmamk_f32 v15, v12, 0xbf5db3d7, v61
	v_mul_f32_e32 v51, 0xbf5db3d7, v14
	v_dual_mul_f32 v57, 0.5, v14 :: v_dual_mul_f32 v58, -0.5, v20
	s_delay_alu instid0(VALU_DEP_4) | instskip(NEXT) | instid1(VALU_DEP_3)
	v_sub_f32_e32 v22, v50, v23
	v_fmac_f32_e32 v51, 0.5, v15
	v_mul_f32_e32 v55, 0xbf5db3d7, v20
	s_delay_alu instid0(VALU_DEP_4) | instskip(NEXT) | instid1(VALU_DEP_3)
	v_fmac_f32_e32 v57, 0x3f5db3d7, v15
	v_dual_add_f32 v14, v52, v51 :: v_dual_fmac_f32 v61, 0x3f5db3d7, v12
	v_add_f32_e32 v12, v50, v23
	s_delay_alu instid0(VALU_DEP_3) | instskip(SKIP_1) | instid1(VALU_DEP_4)
	v_dual_sub_f32 v50, v52, v51 :: v_dual_add_f32 v15, v54, v57
	v_sub_f32_e32 v51, v54, v57
	v_fmac_f32_e32 v55, -0.5, v61
	s_delay_alu instid0(VALU_DEP_1) | instskip(SKIP_2) | instid1(VALU_DEP_2)
	v_add_f32_e32 v20, v48, v55
	v_dual_fmac_f32 v58, 0x3f5db3d7, v61 :: v_dual_add_f32 v13, v53, v56
	v_dual_sub_f32 v23, v53, v56 :: v_dual_sub_f32 v48, v48, v55
	v_add_f32_e32 v21, v49, v58
	v_sub_f32_e32 v49, v49, v58
	ds_store_2addr_b64 v93, v[12:13], v[14:15] offset1:26
	ds_store_2addr_b64 v93, v[20:21], v[22:23] offset0:52 offset1:78
	ds_store_2addr_b64 v93, v[50:51], v[48:49] offset0:104 offset1:130
	s_and_saveexec_b32 s0, s1
	s_cbranch_execz .LBB0_29
; %bb.28:
	v_dual_mul_f32 v12, v7, v36 :: v_dual_mul_f32 v15, v64, v46
	v_dual_mul_f32 v13, v3, v42 :: v_dual_mul_f32 v14, v1, v41
	v_dual_mul_f32 v1, v1, v40 :: v_dual_mul_f32 v20, v64, v47
	v_mul_f32_e32 v21, v5, v44
	s_delay_alu instid0(VALU_DEP_4) | instskip(SKIP_1) | instid1(VALU_DEP_4)
	v_fma_f32 v15, v63, v47, -v15
	v_fma_f32 v12, v6, v37, -v12
	;; [unrolled: 1-line block ×3, first 2 shown]
	v_fmac_f32_e32 v20, v63, v46
	v_fma_f32 v13, v2, v43, -v13
	v_dual_mul_f32 v5, v5, v45 :: v_dual_fmac_f32 v14, v0, v40
	v_fma_f32 v0, v4, v45, -v21
	v_add_f32_e32 v21, v22, v15
	s_delay_alu instid0(VALU_DEP_3) | instskip(NEXT) | instid1(VALU_DEP_2)
	v_fmac_f32_e32 v5, v4, v44
	v_fma_f32 v4, -0.5, v21, v0
	v_sub_f32_e32 v21, v14, v20
	v_add_f32_e32 v1, v13, v12
	v_dual_mul_f32 v7, v7, v37 :: v_dual_add_f32 v0, v0, v22
	s_delay_alu instid0(VALU_DEP_1) | instskip(SKIP_1) | instid1(VALU_DEP_4)
	v_dual_fmac_f32 v7, v6, v36 :: v_dual_fmamk_f32 v6, v21, 0xbf5db3d7, v4
	v_fmac_f32_e32 v4, 0x3f5db3d7, v21
	v_fma_f32 v36, -0.5, v1, v39
	v_mul_f32_e32 v23, v3, v43
	v_add_f32_e32 v39, v12, v39
	v_sub_f32_e32 v12, v12, v13
	v_mul_f32_e32 v40, 0.5, v4
	v_add_f32_e32 v3, v14, v20
	v_fmac_f32_e32 v23, v2, v42
	s_delay_alu instid0(VALU_DEP_2) | instskip(SKIP_2) | instid1(VALU_DEP_4)
	v_fma_f32 v2, -0.5, v3, v5
	v_sub_f32_e32 v3, v22, v15
	v_add_f32_e32 v22, v13, v39
	v_add_f32_e32 v42, v23, v7
	v_sub_f32_e32 v1, v7, v23
	v_add_f32_e32 v15, v0, v15
	v_dual_fmamk_f32 v21, v3, 0x3f5db3d7, v2 :: v_dual_add_f32 v0, v38, v7
	s_delay_alu instid0(VALU_DEP_4)
	v_fma_f32 v39, -0.5, v42, v38
	v_mul_f32_e32 v37, -0.5, v6
	v_mul_f32_e32 v6, 0xbf5db3d7, v6
	v_fmac_f32_e32 v2, 0xbf5db3d7, v3
	v_fmamk_f32 v41, v1, 0xbf5db3d7, v36
	v_fmamk_f32 v38, v12, 0x3f5db3d7, v39
	v_fmac_f32_e32 v36, 0x3f5db3d7, v1
	v_dual_fmac_f32 v6, -0.5, v21 :: v_dual_fmac_f32 v39, 0xbf5db3d7, v12
	v_add_f32_e32 v5, v5, v14
	v_dual_fmac_f32 v37, 0x3f5db3d7, v21 :: v_dual_fmac_f32 v40, 0x3f5db3d7, v2
	v_add_f32_e32 v14, v23, v0
	s_delay_alu instid0(VALU_DEP_4) | instskip(NEXT) | instid1(VALU_DEP_4)
	v_sub_f32_e32 v0, v38, v6
	v_add_f32_e32 v20, v5, v20
	v_mul_f32_e32 v21, 0xbf5db3d7, v4
	v_sub_f32_e32 v3, v36, v40
	v_dual_sub_f32 v1, v41, v37 :: v_dual_add_f32 v6, v6, v38
	s_delay_alu instid0(VALU_DEP_4) | instskip(SKIP_4) | instid1(VALU_DEP_3)
	v_sub_f32_e32 v4, v14, v20
	v_add_f32_e32 v14, v20, v14
	v_dual_fmac_f32 v21, 0.5, v2 :: v_dual_and_b32 v2, 0xffff, v87
	v_sub_f32_e32 v5, v22, v15
	v_add_f32_e32 v13, v40, v36
	v_dual_add_f32 v15, v15, v22 :: v_dual_add_f32 v12, v21, v39
	s_delay_alu instid0(VALU_DEP_4)
	v_dual_add_f32 v7, v37, v41 :: v_dual_lshlrev_b32 v20, 3, v2
	v_sub_f32_e32 v2, v39, v21
	ds_store_2addr_b64 v20, v[14:15], v[12:13] offset1:26
	ds_store_2addr_b64 v20, v[6:7], v[4:5] offset0:52 offset1:78
	ds_store_2addr_b64 v20, v[2:3], v[0:1] offset0:104 offset1:130
.LBB0_29:
	s_wait_alu 0xfffe
	s_or_b32 exec_lo, exec_lo, s0
	global_wb scope:SCOPE_SE
	s_wait_dscnt 0x0
	s_barrier_signal -1
	s_barrier_wait -1
	global_inv scope:SCOPE_SE
	ds_load_2addr_b64 v[1:4], v83 offset1:156
	v_add_nc_u32_e32 v0, 0x800, v83
	ds_load_b64 v[5:6], v83 offset:4992
	ds_load_2addr_b64 v[12:15], v0 offset0:56 offset1:212
	v_add_nc_u32_e32 v7, 0x1800, v83
	v_add_nc_u32_e32 v40, 0x2a00, v83
	s_wait_dscnt 0x1
	v_mul_f32_e32 v44, v31, v6
	v_mul_f32_e32 v31, v31, v5
	ds_load_2addr_b64 v[20:23], v7 offset0:12 offset1:168
	v_add_nc_u32_e32 v7, 0x2000, v83
	ds_load_2addr_b64 v[40:43], v40 offset0:60 offset1:216
	v_fmac_f32_e32 v44, v30, v5
	v_fma_f32 v5, v30, v6, -v31
	ds_load_2addr_b64 v[36:39], v7 offset0:68 offset1:224
	v_mul_f32_e32 v7, v33, v4
	v_mul_f32_e32 v33, v33, v3
	s_delay_alu instid0(VALU_DEP_2) | instskip(NEXT) | instid1(VALU_DEP_2)
	v_fmac_f32_e32 v7, v32, v3
	v_fma_f32 v3, v32, v4, -v33
	s_wait_dscnt 0x3
	v_mul_f32_e32 v32, v35, v13
	v_dual_mul_f32 v4, v35, v12 :: v_dual_mul_f32 v33, v29, v15
	s_delay_alu instid0(VALU_DEP_2) | instskip(SKIP_1) | instid1(VALU_DEP_2)
	v_dual_mul_f32 v29, v29, v14 :: v_dual_fmac_f32 v32, v34, v12
	s_wait_dscnt 0x2
	v_dual_mul_f32 v6, v17, v21 :: v_dual_fmac_f32 v33, v28, v14
	s_delay_alu instid0(VALU_DEP_3) | instskip(SKIP_4) | instid1(VALU_DEP_4)
	v_fma_f32 v12, v34, v13, -v4
	v_dual_mul_f32 v4, v17, v20 :: v_dual_add_f32 v17, v2, v3
	v_mul_f32_e32 v14, v19, v23
	v_fma_f32 v13, v28, v15, -v29
	v_dual_fmac_f32 v6, v16, v20 :: v_dual_add_f32 v15, v1, v7
	v_fma_f32 v16, v16, v21, -v4
	s_delay_alu instid0(VALU_DEP_4) | instskip(SKIP_1) | instid1(VALU_DEP_4)
	v_fmac_f32_e32 v14, v18, v22
	v_dual_mul_f32 v4, v19, v22 :: v_dual_add_f32 v17, v17, v12
	v_add_f32_e32 v15, v15, v32
	s_wait_dscnt 0x1
	v_mul_f32_e32 v20, v27, v43
	s_delay_alu instid0(VALU_DEP_3) | instskip(NEXT) | instid1(VALU_DEP_3)
	v_fma_f32 v18, v18, v23, -v4
	v_add_f32_e32 v4, v15, v33
	s_wait_dscnt 0x0
	s_delay_alu instid0(VALU_DEP_3) | instskip(NEXT) | instid1(VALU_DEP_2)
	v_dual_mul_f32 v19, v9, v37 :: v_dual_fmac_f32 v20, v26, v42
	v_add_f32_e32 v4, v4, v44
	v_mul_f32_e32 v9, v9, v36
	s_delay_alu instid0(VALU_DEP_3) | instskip(NEXT) | instid1(VALU_DEP_4)
	v_fmac_f32_e32 v19, v8, v36
	v_add_f32_e32 v23, v7, v20
	s_delay_alu instid0(VALU_DEP_4) | instskip(SKIP_3) | instid1(VALU_DEP_4)
	v_dual_mul_f32 v21, v25, v40 :: v_dual_add_f32 v4, v4, v6
	v_add_f32_e32 v15, v17, v13
	v_fma_f32 v8, v8, v37, -v9
	v_mul_f32_e32 v9, v11, v39
	v_dual_mul_f32 v17, v25, v41 :: v_dual_add_f32 v4, v4, v14
	s_delay_alu instid0(VALU_DEP_4) | instskip(SKIP_1) | instid1(VALU_DEP_3)
	v_add_f32_e32 v15, v15, v5
	v_sub_f32_e32 v7, v7, v20
	v_dual_fmac_f32 v9, v10, v38 :: v_dual_add_f32 v4, v4, v19
	s_delay_alu instid0(VALU_DEP_1) | instskip(NEXT) | instid1(VALU_DEP_1)
	v_dual_mul_f32 v11, v11, v38 :: v_dual_add_f32 v4, v4, v9
	v_fma_f32 v10, v10, v39, -v11
	v_mul_f32_e32 v11, v27, v42
	s_delay_alu instid0(VALU_DEP_1) | instskip(SKIP_1) | instid1(VALU_DEP_2)
	v_fma_f32 v11, v26, v43, -v11
	v_add_f32_e32 v15, v15, v16
	v_dual_fmac_f32 v17, v24, v40 :: v_dual_sub_f32 v22, v3, v11
	s_delay_alu instid0(VALU_DEP_1) | instskip(SKIP_1) | instid1(VALU_DEP_2)
	v_mul_f32_e32 v25, 0xbf0a6770, v22
	v_mul_f32_e32 v36, 0xbf4178ce, v22
	v_fmamk_f32 v26, v23, 0x3f575c64, v25
	v_fma_f32 v21, v24, v41, -v21
	v_add_f32_e32 v24, v3, v11
	v_add_f32_e32 v15, v15, v18
	v_mul_f32_e32 v29, 0xbf7d64f0, v22
	s_delay_alu instid0(VALU_DEP_4) | instskip(NEXT) | instid1(VALU_DEP_4)
	v_dual_add_f32 v26, v1, v26 :: v_dual_sub_f32 v41, v12, v21
	v_mul_f32_e32 v28, 0x3ed4b147, v24
	s_delay_alu instid0(VALU_DEP_4) | instskip(SKIP_1) | instid1(VALU_DEP_3)
	v_dual_add_f32 v15, v15, v8 :: v_dual_add_f32 v12, v12, v21
	v_mul_f32_e32 v37, 0xbf27a4f4, v24
	v_fmamk_f32 v30, v7, 0x3f68dda4, v28
	s_delay_alu instid0(VALU_DEP_1) | instskip(SKIP_4) | instid1(VALU_DEP_4)
	v_dual_mul_f32 v43, 0xbf75a155, v12 :: v_dual_add_f32 v30, v2, v30
	v_dual_mul_f32 v31, 0xbe11bafb, v24 :: v_dual_fmamk_f32 v34, v23, 0xbe11bafb, v29
	v_fmamk_f32 v38, v23, 0xbf27a4f4, v36
	v_fma_f32 v36, 0xbf27a4f4, v23, -v36
	v_fma_f32 v29, 0xbe11bafb, v23, -v29
	v_add_f32_e32 v34, v1, v34
	v_dual_add_f32 v15, v15, v10 :: v_dual_fmac_f32 v28, 0xbf68dda4, v7
	v_dual_add_f32 v3, v4, v17 :: v_dual_add_f32 v38, v1, v38
	v_add_f32_e32 v36, v1, v36
	s_delay_alu instid0(VALU_DEP_3) | instskip(SKIP_1) | instid1(VALU_DEP_4)
	v_add_f32_e32 v4, v15, v21
	v_fma_f32 v25, 0x3f575c64, v23, -v25
	v_add_f32_e32 v3, v3, v20
	v_mul_f32_e32 v15, 0x3f575c64, v24
	v_add_f32_e32 v28, v2, v28
	s_delay_alu instid0(VALU_DEP_4) | instskip(SKIP_1) | instid1(VALU_DEP_4)
	v_dual_add_f32 v4, v4, v11 :: v_dual_add_f32 v25, v1, v25
	v_mul_f32_e32 v11, 0xbf68dda4, v22
	v_fmamk_f32 v20, v7, 0x3f0a6770, v15
	v_fmac_f32_e32 v15, 0xbf0a6770, v7
	v_dual_mul_f32 v22, 0xbe903f40, v22 :: v_dual_add_f32 v29, v1, v29
	v_mul_f32_e32 v24, 0xbf75a155, v24
	s_delay_alu instid0(VALU_DEP_4) | instskip(NEXT) | instid1(VALU_DEP_3)
	v_add_f32_e32 v20, v2, v20
	v_dual_add_f32 v15, v2, v15 :: v_dual_fmamk_f32 v40, v23, 0xbf75a155, v22
	v_fmamk_f32 v27, v23, 0x3ed4b147, v11
	v_fmamk_f32 v39, v7, 0x3f4178ce, v37
	v_fmac_f32_e32 v37, 0xbf4178ce, v7
	v_fma_f32 v11, 0x3ed4b147, v23, -v11
	v_add_f32_e32 v40, v1, v40
	v_dual_add_f32 v27, v1, v27 :: v_dual_fmamk_f32 v42, v7, 0x3e903f40, v24
	v_fmamk_f32 v35, v7, 0x3f7d64f0, v31
	v_add_f32_e32 v37, v2, v37
	v_fma_f32 v22, 0xbf75a155, v23, -v22
	v_dual_add_f32 v21, v32, v17 :: v_dual_fmac_f32 v24, 0xbe903f40, v7
	v_mul_f32_e32 v23, 0xbf68dda4, v41
	v_fmac_f32_e32 v31, 0xbf7d64f0, v7
	v_dual_sub_f32 v7, v32, v17 :: v_dual_add_f32 v32, v2, v42
	s_delay_alu instid0(VALU_DEP_3) | instskip(SKIP_3) | instid1(VALU_DEP_4)
	v_dual_add_f32 v35, v2, v35 :: v_dual_fmamk_f32 v42, v21, 0x3ed4b147, v23
	v_mul_f32_e32 v17, 0x3ed4b147, v12
	v_add_f32_e32 v11, v1, v11
	v_add_f32_e32 v31, v2, v31
	;; [unrolled: 1-line block ×3, first 2 shown]
	v_dual_mul_f32 v42, 0xbf27a4f4, v12 :: v_dual_add_f32 v1, v1, v22
	v_fmamk_f32 v22, v7, 0x3f68dda4, v17
	s_delay_alu instid0(VALU_DEP_1) | instskip(SKIP_3) | instid1(VALU_DEP_1)
	v_add_f32_e32 v20, v22, v20
	v_add_f32_e32 v39, v2, v39
	v_add_f32_e32 v2, v2, v24
	v_mul_f32_e32 v24, 0xbf4178ce, v41
	v_fmamk_f32 v22, v21, 0xbf27a4f4, v24
	v_fma_f32 v24, 0xbf27a4f4, v21, -v24
	s_delay_alu instid0(VALU_DEP_2) | instskip(SKIP_1) | instid1(VALU_DEP_3)
	v_add_f32_e32 v22, v22, v27
	v_fma_f32 v23, 0x3ed4b147, v21, -v23
	v_add_f32_e32 v11, v24, v11
	s_delay_alu instid0(VALU_DEP_2) | instskip(SKIP_1) | instid1(VALU_DEP_1)
	v_add_f32_e32 v23, v23, v25
	v_fmamk_f32 v25, v7, 0x3f4178ce, v42
	v_dual_fmac_f32 v42, 0xbf4178ce, v7 :: v_dual_add_f32 v25, v25, v30
	s_delay_alu instid0(VALU_DEP_1) | instskip(SKIP_2) | instid1(VALU_DEP_1)
	v_add_f32_e32 v24, v42, v28
	v_fmamk_f32 v28, v7, 0xbe903f40, v43
	v_mul_f32_e32 v30, 0x3f7d64f0, v41
	v_dual_add_f32 v28, v28, v35 :: v_dual_fmamk_f32 v35, v21, 0xbe11bafb, v30
	v_fma_f32 v30, 0xbe11bafb, v21, -v30
	s_delay_alu instid0(VALU_DEP_1) | instskip(NEXT) | instid1(VALU_DEP_1)
	v_dual_fmac_f32 v17, 0xbf68dda4, v7 :: v_dual_add_f32 v30, v30, v36
	v_add_f32_e32 v15, v17, v15
	v_dual_mul_f32 v17, 0x3e903f40, v41 :: v_dual_sub_f32 v36, v13, v10
	v_add_f32_e32 v10, v13, v10
	s_delay_alu instid0(VALU_DEP_2) | instskip(SKIP_1) | instid1(VALU_DEP_2)
	v_fmamk_f32 v27, v21, 0xbf75a155, v17
	v_fma_f32 v17, 0xbf75a155, v21, -v17
	v_dual_add_f32 v27, v27, v34 :: v_dual_mul_f32 v34, 0xbe11bafb, v12
	v_mul_f32_e32 v12, 0x3f575c64, v12
	v_mul_f32_e32 v41, 0x3f0a6770, v41
	s_delay_alu instid0(VALU_DEP_4) | instskip(SKIP_4) | instid1(VALU_DEP_2)
	v_add_f32_e32 v17, v17, v29
	v_add_f32_e32 v35, v35, v38
	v_fmamk_f32 v29, v7, 0xbf7d64f0, v34
	v_fmac_f32_e32 v34, 0x3f7d64f0, v7
	v_fmamk_f32 v38, v21, 0x3f575c64, v41
	v_add_f32_e32 v34, v34, v37
	s_delay_alu instid0(VALU_DEP_2)
	v_dual_add_f32 v37, v38, v40 :: v_dual_fmamk_f32 v38, v7, 0xbf0a6770, v12
	v_fmac_f32_e32 v12, 0x3f0a6770, v7
	v_fmac_f32_e32 v43, 0x3e903f40, v7
	v_fma_f32 v13, 0x3f575c64, v21, -v41
	v_sub_f32_e32 v7, v33, v9
	v_mul_f32_e32 v21, 0xbe11bafb, v10
	v_dual_mul_f32 v40, 0xbf7d64f0, v36 :: v_dual_add_f32 v29, v29, v39
	v_add_f32_e32 v39, v33, v9
	v_dual_add_f32 v1, v13, v1 :: v_dual_add_f32 v2, v12, v2
	s_delay_alu instid0(VALU_DEP_4) | instskip(SKIP_3) | instid1(VALU_DEP_4)
	v_fmamk_f32 v12, v7, 0x3f7d64f0, v21
	v_mul_f32_e32 v13, 0x3e903f40, v36
	v_add_f32_e32 v32, v38, v32
	v_dual_mul_f32 v38, 0x3f575c64, v10 :: v_dual_add_f32 v31, v43, v31
	v_add_f32_e32 v12, v12, v20
	s_delay_alu instid0(VALU_DEP_4) | instskip(NEXT) | instid1(VALU_DEP_1)
	v_dual_fmamk_f32 v20, v39, 0xbf75a155, v13 :: v_dual_mul_f32 v33, 0xbf75a155, v10
	v_dual_add_f32 v20, v20, v22 :: v_dual_fmamk_f32 v9, v39, 0xbe11bafb, v40
	s_delay_alu instid0(VALU_DEP_1) | instskip(SKIP_1) | instid1(VALU_DEP_1)
	v_add_f32_e32 v9, v9, v26
	v_fma_f32 v26, 0xbe11bafb, v39, -v40
	v_dual_add_f32 v23, v26, v23 :: v_dual_mul_f32 v26, 0x3f68dda4, v36
	s_delay_alu instid0(VALU_DEP_1) | instskip(SKIP_2) | instid1(VALU_DEP_3)
	v_fmamk_f32 v22, v39, 0x3ed4b147, v26
	v_fmac_f32_e32 v21, 0xbf7d64f0, v7
	v_fma_f32 v26, 0x3ed4b147, v39, -v26
	v_add_f32_e32 v22, v22, v27
	s_delay_alu instid0(VALU_DEP_3) | instskip(SKIP_2) | instid1(VALU_DEP_2)
	v_add_f32_e32 v15, v21, v15
	v_fmamk_f32 v21, v7, 0xbe903f40, v33
	v_fmac_f32_e32 v33, 0x3e903f40, v7
	v_add_f32_e32 v21, v21, v25
	v_mul_f32_e32 v25, 0x3ed4b147, v10
	v_mul_f32_e32 v10, 0xbf27a4f4, v10
	s_delay_alu instid0(VALU_DEP_2) | instskip(SKIP_1) | instid1(VALU_DEP_2)
	v_fmamk_f32 v27, v7, 0xbf68dda4, v25
	v_fmac_f32_e32 v25, 0x3f68dda4, v7
	v_add_f32_e32 v27, v27, v28
	v_fmamk_f32 v28, v7, 0x3f0a6770, v38
	v_fmac_f32_e32 v38, 0xbf0a6770, v7
	s_delay_alu instid0(VALU_DEP_2) | instskip(SKIP_1) | instid1(VALU_DEP_1)
	v_add_f32_e32 v28, v28, v29
	v_fma_f32 v13, 0xbf75a155, v39, -v13
	v_add_f32_e32 v11, v13, v11
	v_add_f32_e32 v13, v33, v24
	v_mul_f32_e32 v24, 0xbf0a6770, v36
	s_delay_alu instid0(VALU_DEP_1) | instskip(SKIP_1) | instid1(VALU_DEP_1)
	v_fmamk_f32 v33, v39, 0x3f575c64, v24
	v_fma_f32 v24, 0x3f575c64, v39, -v24
	v_add_f32_e32 v24, v24, v30
	v_add_f32_e32 v30, v38, v34
	v_dual_sub_f32 v34, v5, v8 :: v_dual_add_f32 v17, v26, v17
	v_add_f32_e32 v25, v25, v31
	v_dual_add_f32 v26, v33, v35 :: v_dual_mul_f32 v31, 0xbf4178ce, v36
	v_fmamk_f32 v33, v7, 0x3f4178ce, v10
	v_dual_add_f32 v5, v5, v8 :: v_dual_fmac_f32 v10, 0xbf4178ce, v7
	v_sub_f32_e32 v7, v44, v19
	s_delay_alu instid0(VALU_DEP_3)
	v_dual_fmamk_f32 v29, v39, 0xbf27a4f4, v31 :: v_dual_add_f32 v32, v33, v32
	v_add_f32_e32 v33, v44, v19
	v_fma_f32 v31, 0xbf27a4f4, v39, -v31
	v_mul_f32_e32 v19, 0xbf27a4f4, v5
	v_mul_f32_e32 v8, 0xbf4178ce, v34
	v_add_f32_e32 v2, v10, v2
	s_delay_alu instid0(VALU_DEP_4) | instskip(NEXT) | instid1(VALU_DEP_4)
	v_dual_mul_f32 v10, 0x3f7d64f0, v34 :: v_dual_add_f32 v1, v31, v1
	v_fmamk_f32 v31, v7, 0x3f4178ce, v19
	s_delay_alu instid0(VALU_DEP_4) | instskip(SKIP_1) | instid1(VALU_DEP_3)
	v_fmamk_f32 v35, v33, 0xbf27a4f4, v8
	v_fma_f32 v8, 0xbf27a4f4, v33, -v8
	v_dual_add_f32 v12, v31, v12 :: v_dual_fmac_f32 v19, 0xbf4178ce, v7
	s_delay_alu instid0(VALU_DEP_3) | instskip(NEXT) | instid1(VALU_DEP_3)
	v_add_f32_e32 v9, v35, v9
	v_dual_mul_f32 v31, 0xbe11bafb, v5 :: v_dual_add_f32 v8, v8, v23
	s_delay_alu instid0(VALU_DEP_3) | instskip(SKIP_2) | instid1(VALU_DEP_2)
	v_add_f32_e32 v15, v19, v15
	v_fmamk_f32 v35, v33, 0xbe11bafb, v10
	v_fma_f32 v10, 0xbe11bafb, v33, -v10
	v_dual_add_f32 v19, v35, v20 :: v_dual_mul_f32 v20, 0xbf0a6770, v34
	s_delay_alu instid0(VALU_DEP_2) | instskip(NEXT) | instid1(VALU_DEP_2)
	v_dual_mul_f32 v35, 0x3f575c64, v5 :: v_dual_add_f32 v10, v10, v11
	v_fmamk_f32 v36, v33, 0x3f575c64, v20
	v_fmamk_f32 v23, v7, 0xbf7d64f0, v31
	v_fmac_f32_e32 v31, 0x3f7d64f0, v7
	v_fma_f32 v20, 0x3f575c64, v33, -v20
	s_delay_alu instid0(VALU_DEP_3) | instskip(NEXT) | instid1(VALU_DEP_3)
	v_dual_add_f32 v22, v36, v22 :: v_dual_add_f32 v21, v23, v21
	v_add_f32_e32 v11, v31, v13
	v_fmamk_f32 v13, v7, 0x3f0a6770, v35
	v_fmac_f32_e32 v35, 0xbf0a6770, v7
	v_add_f32_e32 v17, v20, v17
	s_delay_alu instid0(VALU_DEP_3) | instskip(SKIP_1) | instid1(VALU_DEP_4)
	v_add_f32_e32 v13, v13, v27
	v_mul_f32_e32 v27, 0xbf75a155, v5
	v_dual_add_f32 v20, v35, v25 :: v_dual_mul_f32 v23, 0xbe903f40, v34
	v_mul_f32_e32 v25, 0x3f68dda4, v34
	s_delay_alu instid0(VALU_DEP_3) | instskip(SKIP_1) | instid1(VALU_DEP_4)
	v_fmamk_f32 v34, v7, 0x3e903f40, v27
	v_fmac_f32_e32 v27, 0xbe903f40, v7
	v_fmamk_f32 v31, v33, 0xbf75a155, v23
	v_fma_f32 v23, 0xbf75a155, v33, -v23
	s_delay_alu instid0(VALU_DEP_4) | instskip(NEXT) | instid1(VALU_DEP_3)
	v_dual_add_f32 v28, v34, v28 :: v_dual_add_f32 v29, v29, v37
	v_dual_add_f32 v26, v31, v26 :: v_dual_fmamk_f32 v31, v33, 0x3ed4b147, v25
	s_delay_alu instid0(VALU_DEP_3) | instskip(SKIP_2) | instid1(VALU_DEP_4)
	v_add_f32_e32 v23, v23, v24
	v_dual_add_f32 v24, v27, v30 :: v_dual_mul_f32 v5, 0x3ed4b147, v5
	v_fma_f32 v25, 0x3ed4b147, v33, -v25
	v_add_f32_e32 v27, v31, v29
	v_sub_f32_e32 v33, v6, v14
	v_sub_f32_e32 v29, v16, v18
	v_add_f32_e32 v16, v16, v18
	v_fmamk_f32 v30, v7, 0xbf68dda4, v5
	v_dual_add_f32 v18, v6, v14 :: v_dual_fmac_f32 v5, 0x3f68dda4, v7
	s_delay_alu instid0(VALU_DEP_4) | instskip(NEXT) | instid1(VALU_DEP_4)
	v_mul_f32_e32 v31, 0xbe903f40, v29
	v_mul_f32_e32 v6, 0xbf75a155, v16
	s_delay_alu instid0(VALU_DEP_4) | instskip(NEXT) | instid1(VALU_DEP_3)
	v_dual_add_f32 v30, v30, v32 :: v_dual_add_f32 v25, v25, v1
	v_dual_add_f32 v32, v5, v2 :: v_dual_fmamk_f32 v7, v18, 0xbf75a155, v31
	s_delay_alu instid0(VALU_DEP_3) | instskip(SKIP_2) | instid1(VALU_DEP_3)
	v_fmamk_f32 v2, v33, 0x3e903f40, v6
	v_fma_f32 v5, 0xbf75a155, v18, -v31
	v_mul_f32_e32 v14, 0x3f0a6770, v29
	v_dual_add_f32 v1, v7, v9 :: v_dual_add_f32 v2, v2, v12
	v_mul_f32_e32 v12, 0x3f575c64, v16
	s_delay_alu instid0(VALU_DEP_4) | instskip(NEXT) | instid1(VALU_DEP_4)
	v_add_f32_e32 v5, v5, v8
	v_fmamk_f32 v7, v18, 0x3f575c64, v14
	v_fma_f32 v9, 0x3f575c64, v18, -v14
	ds_store_2addr_b64 v83, v[3:4], v[1:2] offset1:156
	v_add_nc_u32_e32 v2, 0x2400, v83
	v_fmac_f32_e32 v6, 0xbe903f40, v33
	v_fmamk_f32 v8, v33, 0xbf0a6770, v12
	v_dual_fmac_f32 v12, 0x3f0a6770, v33 :: v_dual_add_f32 v7, v7, v19
	s_delay_alu instid0(VALU_DEP_3) | instskip(SKIP_1) | instid1(VALU_DEP_4)
	v_dual_mul_f32 v19, 0xbf27a4f4, v16 :: v_dual_add_f32 v6, v6, v15
	v_mul_f32_e32 v15, 0xbf4178ce, v29
	v_add_f32_e32 v8, v8, v21
	v_mul_f32_e32 v21, 0x3f68dda4, v29
	v_add_f32_e32 v9, v9, v10
	v_add_nc_u32_e32 v1, 0x1c00, v83
	v_fmamk_f32 v14, v18, 0xbf27a4f4, v15
	v_add_f32_e32 v10, v12, v11
	v_fmamk_f32 v12, v33, 0x3f4178ce, v19
	v_fmac_f32_e32 v19, 0xbf4178ce, v33
	s_delay_alu instid0(VALU_DEP_4) | instskip(SKIP_3) | instid1(VALU_DEP_3)
	v_add_f32_e32 v11, v14, v22
	v_fma_f32 v14, 0xbf27a4f4, v18, -v15
	v_dual_fmamk_f32 v15, v18, 0x3ed4b147, v21 :: v_dual_mul_f32 v22, 0x3ed4b147, v16
	v_add_f32_e32 v12, v12, v13
	v_add_f32_e32 v13, v14, v17
	s_delay_alu instid0(VALU_DEP_3) | instskip(NEXT) | instid1(VALU_DEP_4)
	v_dual_add_f32 v15, v15, v26 :: v_dual_mul_f32 v26, 0xbe11bafb, v16
	v_dual_add_f32 v14, v19, v20 :: v_dual_fmamk_f32 v17, v33, 0xbf68dda4, v22
	v_fma_f32 v19, 0x3ed4b147, v18, -v21
	v_fmac_f32_e32 v22, 0x3f68dda4, v33
	s_delay_alu instid0(VALU_DEP_4) | instskip(SKIP_3) | instid1(VALU_DEP_2)
	v_fmamk_f32 v21, v33, 0x3f7d64f0, v26
	v_fmac_f32_e32 v26, 0xbf7d64f0, v33
	v_mul_f32_e32 v20, 0xbf7d64f0, v29
	v_dual_add_f32 v16, v17, v28 :: v_dual_add_f32 v17, v19, v23
	v_fmamk_f32 v19, v18, 0xbe11bafb, v20
	v_fma_f32 v23, 0xbe11bafb, v18, -v20
	v_add_f32_e32 v20, v21, v30
	v_add_f32_e32 v18, v22, v24
	s_delay_alu instid0(VALU_DEP_4) | instskip(NEXT) | instid1(VALU_DEP_4)
	v_dual_add_f32 v22, v26, v32 :: v_dual_add_f32 v19, v19, v27
	v_add_f32_e32 v21, v23, v25
	ds_store_2addr_b64 v0, v[7:8], v[11:12] offset0:56 offset1:212
	ds_store_b64 v83, v[15:16] offset:4992
	ds_store_b64 v83, v[19:20] offset:6240
	ds_store_2addr_b64 v1, v[21:22], v[17:18] offset0:40 offset1:196
	ds_store_2addr_b64 v2, v[13:14], v[9:10] offset0:96 offset1:252
	ds_store_b64 v83, v[5:6] offset:12480
	global_wb scope:SCOPE_SE
	s_wait_dscnt 0x0
	s_barrier_signal -1
	s_barrier_wait -1
	global_inv scope:SCOPE_SE
	s_and_b32 exec_lo, exec_lo, vcc_lo
	s_cbranch_execz .LBB0_31
; %bb.30:
	s_clause 0xb
	global_load_b64 v[27:28], v83, s[8:9]
	global_load_b64 v[29:30], v83, s[8:9] offset:1056
	global_load_b64 v[31:32], v83, s[8:9] offset:2112
	global_load_b64 v[33:34], v83, s[8:9] offset:3168
	global_load_b64 v[35:36], v83, s[8:9] offset:4224
	global_load_b64 v[37:38], v83, s[8:9] offset:5280
	global_load_b64 v[39:40], v83, s[8:9] offset:6336
	global_load_b64 v[41:42], v83, s[8:9] offset:7392
	global_load_b64 v[43:44], v83, s[8:9] offset:8448
	global_load_b64 v[45:46], v83, s[8:9] offset:9504
	global_load_b64 v[47:48], v83, s[8:9] offset:10560
	global_load_b64 v[49:50], v83, s[8:9] offset:11616
	v_mad_co_u64_u32 v[15:16], null, s6, v60, 0
	v_mad_co_u64_u32 v[51:52], null, s4, v84, 0
	ds_load_b64 v[53:54], v83
	s_mov_b32 s2, 0x58e9ebb6
	s_mov_b32 s3, 0x3f431877
	v_dual_mov_b32 v0, v16 :: v_dual_add_nc_u32 v3, 0x400, v83
	s_mul_u64 s[0:1], s[4:5], 0x420
	v_mov_b32_e32 v7, v52
	ds_load_2addr_b64 v[3:6], v3 offset0:4 offset1:136
	v_mad_co_u64_u32 v[11:12], null, s7, v60, v[0:1]
	v_add_nc_u32_e32 v0, 0xc00, v83
	v_add_nc_u32_e32 v12, 0x1400, v83
	v_mad_co_u64_u32 v[17:18], null, s5, v84, v[7:8]
	ds_load_2addr_b64 v[7:10], v0 offset0:12 offset1:144
	v_mov_b32_e32 v16, v11
	ds_load_2addr_b64 v[11:14], v12 offset0:20 offset1:152
	v_add_nc_u32_e32 v0, 0x2c00, v83
	s_wait_loadcnt_dscnt 0x801
	v_dual_mov_b32 v52, v17 :: v_dual_mul_f32 v57, v8, v34
	v_lshlrev_b64_e32 v[55:56], 3, v[15:16]
	s_wait_loadcnt_dscnt 0x600
	v_mul_f32_e32 v59, v12, v38
	ds_load_2addr_b64 v[15:18], v1 offset0:28 offset1:160
	ds_load_2addr_b64 v[19:22], v2 offset0:36 offset1:168
	;; [unrolled: 1-line block ×3, first 2 shown]
	v_mul_f32_e32 v2, v54, v28
	v_mul_f32_e32 v28, v53, v28
	;; [unrolled: 1-line block ×3, first 2 shown]
	v_dual_mul_f32 v58, v10, v36 :: v_dual_fmac_f32 v59, v11, v37
	v_mul_f32_e32 v38, v11, v38
	v_add_co_u32 v55, vcc_lo, s12, v55
	s_delay_alu instid0(VALU_DEP_3)
	v_fmac_f32_e32 v58, v9, v35
	v_add_co_ci_u32_e32 v56, vcc_lo, s13, v56, vcc_lo
	v_fmac_f32_e32 v57, v7, v33
	s_wait_loadcnt_dscnt 0x402
	v_mul_f32_e32 v61, v16, v42
	v_lshlrev_b64_e32 v[0:1], 3, v[51:52]
	v_mul_f32_e32 v51, v4, v30
	v_mul_f32_e32 v30, v3, v30
	;; [unrolled: 1-line block ×4, first 2 shown]
	v_dual_mul_f32 v36, v9, v36 :: v_dual_fmac_f32 v61, v15, v41
	s_wait_loadcnt_dscnt 0x201
	v_mul_f32_e32 v63, v20, v46
	s_wait_loadcnt_dscnt 0x0
	v_dual_mul_f32 v65, v24, v50 :: v_dual_fmac_f32 v2, v53, v27
	v_fma_f32 v27, v27, v54, -v28
	s_delay_alu instid0(VALU_DEP_3) | instskip(NEXT) | instid1(VALU_DEP_3)
	v_dual_mul_f32 v60, v14, v40 :: v_dual_fmac_f32 v63, v19, v45
	v_dual_mul_f32 v40, v13, v40 :: v_dual_fmac_f32 v65, v23, v49
	v_fmac_f32_e32 v51, v3, v29
	v_fma_f32 v28, v29, v4, -v30
	v_mul_f32_e32 v42, v15, v42
	v_fmac_f32_e32 v52, v5, v31
	v_fma_f32 v29, v31, v6, -v32
	v_mul_f32_e32 v62, v18, v44
	v_mul_f32_e32 v44, v17, v44
	v_fma_f32 v30, v33, v8, -v34
	v_mul_f32_e32 v46, v19, v46
	v_mul_f32_e32 v64, v22, v48
	v_fma_f32 v31, v35, v10, -v36
	v_mul_f32_e32 v48, v21, v48
	v_fma_f32 v32, v37, v12, -v38
	v_cvt_f64_f32_e32 v[2:3], v2
	v_cvt_f64_f32_e32 v[4:5], v27
	v_mul_f32_e32 v50, v23, v50
	v_fmac_f32_e32 v60, v13, v39
	v_fma_f32 v33, v39, v14, -v40
	v_cvt_f64_f32_e32 v[6:7], v51
	v_cvt_f64_f32_e32 v[8:9], v28
	v_fma_f32 v35, v41, v16, -v42
	v_cvt_f64_f32_e32 v[10:11], v52
	v_cvt_f64_f32_e32 v[12:13], v29
	v_fmac_f32_e32 v62, v17, v43
	v_fma_f32 v39, v43, v18, -v44
	v_cvt_f64_f32_e32 v[14:15], v57
	v_cvt_f64_f32_e32 v[16:17], v30
	v_fma_f32 v43, v45, v20, -v46
	v_fmac_f32_e32 v64, v21, v47
	v_cvt_f64_f32_e32 v[18:19], v58
	v_cvt_f64_f32_e32 v[20:21], v31
	v_fma_f32 v47, v47, v22, -v48
	v_cvt_f64_f32_e32 v[22:23], v59
	v_cvt_f64_f32_e32 v[27:28], v32
	v_fma_f32 v24, v49, v24, -v50
	v_cvt_f64_f32_e32 v[29:30], v60
	v_cvt_f64_f32_e32 v[31:32], v33
	;; [unrolled: 1-line block ×12, first 2 shown]
	v_add_co_u32 v0, vcc_lo, v55, v0
	s_wait_alu 0xfffd
	v_add_co_ci_u32_e32 v1, vcc_lo, v56, v1, vcc_lo
	s_wait_alu 0xfffe
	v_mul_f64_e32 v[2:3], s[2:3], v[2:3]
	v_mul_f64_e32 v[4:5], s[2:3], v[4:5]
	v_add_co_u32 v53, vcc_lo, v0, s0
	s_wait_alu 0xfffd
	v_add_co_ci_u32_e32 v54, vcc_lo, s1, v1, vcc_lo
	v_mul_f64_e32 v[6:7], s[2:3], v[6:7]
	v_mul_f64_e32 v[8:9], s[2:3], v[8:9]
	;; [unrolled: 1-line block ×4, first 2 shown]
	v_add_co_u32 v55, vcc_lo, v53, s0
	v_mul_f64_e32 v[14:15], s[2:3], v[14:15]
	v_mul_f64_e32 v[16:17], s[2:3], v[16:17]
	s_wait_alu 0xfffd
	v_add_co_ci_u32_e32 v56, vcc_lo, s1, v54, vcc_lo
	v_mul_f64_e32 v[18:19], s[2:3], v[18:19]
	v_mul_f64_e32 v[20:21], s[2:3], v[20:21]
	v_add_co_u32 v57, vcc_lo, v55, s0
	v_mul_f64_e32 v[22:23], s[2:3], v[22:23]
	v_mul_f64_e32 v[27:28], s[2:3], v[27:28]
	;; [unrolled: 1-line block ×14, first 2 shown]
	s_wait_alu 0xfffd
	v_add_co_ci_u32_e32 v58, vcc_lo, s1, v56, vcc_lo
	v_add_co_u32 v59, vcc_lo, v57, s0
	v_cvt_f32_f64_e32 v2, v[2:3]
	v_cvt_f32_f64_e32 v3, v[4:5]
	s_wait_alu 0xfffd
	v_add_co_ci_u32_e32 v60, vcc_lo, s1, v58, vcc_lo
	v_add_co_u32 v61, vcc_lo, v59, s0
	v_cvt_f32_f64_e32 v4, v[6:7]
	v_cvt_f32_f64_e32 v5, v[8:9]
	;; [unrolled: 1-line block ×4, first 2 shown]
	s_wait_alu 0xfffd
	v_add_co_ci_u32_e32 v62, vcc_lo, s1, v60, vcc_lo
	v_cvt_f32_f64_e32 v8, v[14:15]
	v_cvt_f32_f64_e32 v9, v[16:17]
	;; [unrolled: 1-line block ×18, first 2 shown]
	v_add_co_u32 v29, vcc_lo, v61, s0
	s_wait_alu 0xfffd
	v_add_co_ci_u32_e32 v30, vcc_lo, s1, v62, vcc_lo
	s_delay_alu instid0(VALU_DEP_2) | instskip(SKIP_1) | instid1(VALU_DEP_2)
	v_add_co_u32 v31, vcc_lo, v29, s0
	s_wait_alu 0xfffd
	v_add_co_ci_u32_e32 v32, vcc_lo, s1, v30, vcc_lo
	s_delay_alu instid0(VALU_DEP_2) | instskip(SKIP_1) | instid1(VALU_DEP_2)
	;; [unrolled: 4-line block ×5, first 2 shown]
	v_add_co_u32 v39, vcc_lo, v37, s0
	s_wait_alu 0xfffd
	v_add_co_ci_u32_e32 v40, vcc_lo, s1, v38, vcc_lo
	s_clause 0x4
	global_store_b64 v[0:1], v[2:3], off
	global_store_b64 v[53:54], v[4:5], off
	;; [unrolled: 1-line block ×12, first 2 shown]
	global_load_b64 v[0:1], v83, s[8:9] offset:12672
	s_wait_loadcnt 0x0
	v_mul_f32_e32 v2, v26, v1
	v_mul_f32_e32 v1, v25, v1
	s_delay_alu instid0(VALU_DEP_2) | instskip(NEXT) | instid1(VALU_DEP_2)
	v_fmac_f32_e32 v2, v25, v0
	v_fma_f32 v3, v0, v26, -v1
	s_delay_alu instid0(VALU_DEP_2) | instskip(NEXT) | instid1(VALU_DEP_2)
	v_cvt_f64_f32_e32 v[0:1], v2
	v_cvt_f64_f32_e32 v[2:3], v3
	s_delay_alu instid0(VALU_DEP_2) | instskip(NEXT) | instid1(VALU_DEP_2)
	v_mul_f64_e32 v[0:1], s[2:3], v[0:1]
	v_mul_f64_e32 v[2:3], s[2:3], v[2:3]
	s_delay_alu instid0(VALU_DEP_2) | instskip(NEXT) | instid1(VALU_DEP_2)
	v_cvt_f32_f64_e32 v0, v[0:1]
	v_cvt_f32_f64_e32 v1, v[2:3]
	v_add_co_u32 v2, vcc_lo, v39, s0
	s_wait_alu 0xfffd
	v_add_co_ci_u32_e32 v3, vcc_lo, s1, v40, vcc_lo
	global_store_b64 v[2:3], v[0:1], off
.LBB0_31:
	s_nop 0
	s_sendmsg sendmsg(MSG_DEALLOC_VGPRS)
	s_endpgm
	.section	.rodata,"a",@progbits
	.p2align	6, 0x0
	.amdhsa_kernel bluestein_single_fwd_len1716_dim1_sp_op_CI_CI
		.amdhsa_group_segment_fixed_size 13728
		.amdhsa_private_segment_fixed_size 0
		.amdhsa_kernarg_size 104
		.amdhsa_user_sgpr_count 2
		.amdhsa_user_sgpr_dispatch_ptr 0
		.amdhsa_user_sgpr_queue_ptr 0
		.amdhsa_user_sgpr_kernarg_segment_ptr 1
		.amdhsa_user_sgpr_dispatch_id 0
		.amdhsa_user_sgpr_private_segment_size 0
		.amdhsa_wavefront_size32 1
		.amdhsa_uses_dynamic_stack 0
		.amdhsa_enable_private_segment 0
		.amdhsa_system_sgpr_workgroup_id_x 1
		.amdhsa_system_sgpr_workgroup_id_y 0
		.amdhsa_system_sgpr_workgroup_id_z 0
		.amdhsa_system_sgpr_workgroup_info 0
		.amdhsa_system_vgpr_workitem_id 0
		.amdhsa_next_free_vgpr 198
		.amdhsa_next_free_sgpr 14
		.amdhsa_reserve_vcc 1
		.amdhsa_float_round_mode_32 0
		.amdhsa_float_round_mode_16_64 0
		.amdhsa_float_denorm_mode_32 3
		.amdhsa_float_denorm_mode_16_64 3
		.amdhsa_fp16_overflow 0
		.amdhsa_workgroup_processor_mode 1
		.amdhsa_memory_ordered 1
		.amdhsa_forward_progress 0
		.amdhsa_round_robin_scheduling 0
		.amdhsa_exception_fp_ieee_invalid_op 0
		.amdhsa_exception_fp_denorm_src 0
		.amdhsa_exception_fp_ieee_div_zero 0
		.amdhsa_exception_fp_ieee_overflow 0
		.amdhsa_exception_fp_ieee_underflow 0
		.amdhsa_exception_fp_ieee_inexact 0
		.amdhsa_exception_int_div_zero 0
	.end_amdhsa_kernel
	.text
.Lfunc_end0:
	.size	bluestein_single_fwd_len1716_dim1_sp_op_CI_CI, .Lfunc_end0-bluestein_single_fwd_len1716_dim1_sp_op_CI_CI
                                        ; -- End function
	.section	.AMDGPU.csdata,"",@progbits
; Kernel info:
; codeLenInByte = 18820
; NumSgprs: 16
; NumVgprs: 198
; ScratchSize: 0
; MemoryBound: 0
; FloatMode: 240
; IeeeMode: 1
; LDSByteSize: 13728 bytes/workgroup (compile time only)
; SGPRBlocks: 1
; VGPRBlocks: 24
; NumSGPRsForWavesPerEU: 16
; NumVGPRsForWavesPerEU: 198
; Occupancy: 7
; WaveLimiterHint : 1
; COMPUTE_PGM_RSRC2:SCRATCH_EN: 0
; COMPUTE_PGM_RSRC2:USER_SGPR: 2
; COMPUTE_PGM_RSRC2:TRAP_HANDLER: 0
; COMPUTE_PGM_RSRC2:TGID_X_EN: 1
; COMPUTE_PGM_RSRC2:TGID_Y_EN: 0
; COMPUTE_PGM_RSRC2:TGID_Z_EN: 0
; COMPUTE_PGM_RSRC2:TIDIG_COMP_CNT: 0
	.text
	.p2alignl 7, 3214868480
	.fill 96, 4, 3214868480
	.type	__hip_cuid_fa1a04a58610e39e,@object ; @__hip_cuid_fa1a04a58610e39e
	.section	.bss,"aw",@nobits
	.globl	__hip_cuid_fa1a04a58610e39e
__hip_cuid_fa1a04a58610e39e:
	.byte	0                               ; 0x0
	.size	__hip_cuid_fa1a04a58610e39e, 1

	.ident	"AMD clang version 19.0.0git (https://github.com/RadeonOpenCompute/llvm-project roc-6.4.0 25133 c7fe45cf4b819c5991fe208aaa96edf142730f1d)"
	.section	".note.GNU-stack","",@progbits
	.addrsig
	.addrsig_sym __hip_cuid_fa1a04a58610e39e
	.amdgpu_metadata
---
amdhsa.kernels:
  - .args:
      - .actual_access:  read_only
        .address_space:  global
        .offset:         0
        .size:           8
        .value_kind:     global_buffer
      - .actual_access:  read_only
        .address_space:  global
        .offset:         8
        .size:           8
        .value_kind:     global_buffer
      - .actual_access:  read_only
        .address_space:  global
        .offset:         16
        .size:           8
        .value_kind:     global_buffer
      - .actual_access:  read_only
        .address_space:  global
        .offset:         24
        .size:           8
        .value_kind:     global_buffer
      - .actual_access:  read_only
        .address_space:  global
        .offset:         32
        .size:           8
        .value_kind:     global_buffer
      - .offset:         40
        .size:           8
        .value_kind:     by_value
      - .address_space:  global
        .offset:         48
        .size:           8
        .value_kind:     global_buffer
      - .address_space:  global
        .offset:         56
        .size:           8
        .value_kind:     global_buffer
      - .address_space:  global
        .offset:         64
        .size:           8
        .value_kind:     global_buffer
      - .address_space:  global
        .offset:         72
        .size:           8
        .value_kind:     global_buffer
      - .offset:         80
        .size:           4
        .value_kind:     by_value
      - .address_space:  global
        .offset:         88
        .size:           8
        .value_kind:     global_buffer
      - .address_space:  global
        .offset:         96
        .size:           8
        .value_kind:     global_buffer
    .group_segment_fixed_size: 13728
    .kernarg_segment_align: 8
    .kernarg_segment_size: 104
    .language:       OpenCL C
    .language_version:
      - 2
      - 0
    .max_flat_workgroup_size: 156
    .name:           bluestein_single_fwd_len1716_dim1_sp_op_CI_CI
    .private_segment_fixed_size: 0
    .sgpr_count:     16
    .sgpr_spill_count: 0
    .symbol:         bluestein_single_fwd_len1716_dim1_sp_op_CI_CI.kd
    .uniform_work_group_size: 1
    .uses_dynamic_stack: false
    .vgpr_count:     198
    .vgpr_spill_count: 0
    .wavefront_size: 32
    .workgroup_processor_mode: 1
amdhsa.target:   amdgcn-amd-amdhsa--gfx1201
amdhsa.version:
  - 1
  - 2
...

	.end_amdgpu_metadata
